;; amdgpu-corpus repo=ROCm/rocFFT kind=compiled arch=gfx906 opt=O3
	.text
	.amdgcn_target "amdgcn-amd-amdhsa--gfx906"
	.amdhsa_code_object_version 6
	.protected	bluestein_single_fwd_len1666_dim1_sp_op_CI_CI ; -- Begin function bluestein_single_fwd_len1666_dim1_sp_op_CI_CI
	.globl	bluestein_single_fwd_len1666_dim1_sp_op_CI_CI
	.p2align	8
	.type	bluestein_single_fwd_len1666_dim1_sp_op_CI_CI,@function
bluestein_single_fwd_len1666_dim1_sp_op_CI_CI: ; @bluestein_single_fwd_len1666_dim1_sp_op_CI_CI
; %bb.0:
	s_load_dwordx4 s[0:3], s[4:5], 0x28
	v_mul_u32_u24_e32 v1, 0x227, v0
	v_add_u32_sdwa v80, s6, v1 dst_sel:DWORD dst_unused:UNUSED_PAD src0_sel:DWORD src1_sel:WORD_1
	v_mov_b32_e32 v81, 0
	s_waitcnt lgkmcnt(0)
	v_cmp_gt_u64_e32 vcc, s[0:1], v[80:81]
	s_and_saveexec_b64 s[0:1], vcc
	s_cbranch_execz .LBB0_15
; %bb.1:
	s_load_dwordx2 s[8:9], s[4:5], 0x0
	s_load_dwordx2 s[10:11], s[4:5], 0x38
	s_movk_i32 s0, 0x77
	v_mul_lo_u16_sdwa v1, v1, s0 dst_sel:DWORD dst_unused:UNUSED_PAD src0_sel:WORD_1 src1_sel:DWORD
	v_sub_u16_e32 v112, v0, v1
	s_movk_i32 s0, 0x62
	v_cmp_gt_u16_e64 s[0:1], s0, v112
	v_lshlrev_b32_e32 v111, 3, v112
	s_and_saveexec_b64 s[6:7], s[0:1]
	s_cbranch_execz .LBB0_3
; %bb.2:
	s_load_dwordx2 s[12:13], s[4:5], 0x18
	s_waitcnt lgkmcnt(0)
	s_load_dwordx4 s[12:15], s[12:13], 0x0
	s_waitcnt lgkmcnt(0)
	v_mad_u64_u32 v[0:1], s[16:17], s14, v80, 0
	v_mad_u64_u32 v[2:3], s[16:17], s12, v112, 0
	;; [unrolled: 1-line block ×4, first 2 shown]
	v_mov_b32_e32 v1, v4
	v_lshlrev_b64 v[0:1], 3, v[0:1]
	v_mov_b32_e32 v3, v5
	v_mov_b32_e32 v6, s3
	v_lshlrev_b64 v[2:3], 3, v[2:3]
	v_add_co_u32_e32 v0, vcc, s2, v0
	v_addc_co_u32_e32 v1, vcc, v6, v1, vcc
	v_add_co_u32_e32 v0, vcc, v0, v2
	v_addc_co_u32_e32 v1, vcc, v1, v3, vcc
	v_mov_b32_e32 v2, s9
	v_add_co_u32_e32 v68, vcc, s8, v111
	s_mul_i32 s2, s13, 0x310
	s_mul_hi_u32 s3, s12, 0x310
	v_addc_co_u32_e32 v69, vcc, 0, v2, vcc
	s_add_i32 s2, s3, s2
	s_mul_i32 s3, s12, 0x310
	v_mov_b32_e32 v3, s2
	v_add_co_u32_e32 v2, vcc, s3, v0
	v_addc_co_u32_e32 v3, vcc, v1, v3, vcc
	v_mov_b32_e32 v5, s2
	v_add_co_u32_e32 v4, vcc, s3, v2
	v_addc_co_u32_e32 v5, vcc, v3, v5, vcc
	v_mov_b32_e32 v13, s2
	v_add_co_u32_e32 v12, vcc, s3, v4
	v_addc_co_u32_e32 v13, vcc, v5, v13, vcc
	global_load_dwordx2 v[6:7], v111, s[8:9]
	global_load_dwordx2 v[8:9], v111, s[8:9] offset:784
	global_load_dwordx2 v[10:11], v111, s[8:9] offset:1568
	global_load_dwordx2 v[14:15], v[0:1], off
	global_load_dwordx2 v[16:17], v[2:3], off
	;; [unrolled: 1-line block ×4, first 2 shown]
	v_mov_b32_e32 v1, s2
	v_add_co_u32_e32 v0, vcc, s3, v12
	v_addc_co_u32_e32 v1, vcc, v13, v1, vcc
	global_load_dwordx2 v[2:3], v[0:1], off
	v_mov_b32_e32 v4, s2
	v_add_co_u32_e32 v0, vcc, s3, v0
	v_addc_co_u32_e32 v1, vcc, v1, v4, vcc
	global_load_dwordx2 v[4:5], v[0:1], off
	global_load_dwordx2 v[12:13], v111, s[8:9] offset:2352
	global_load_dwordx2 v[22:23], v111, s[8:9] offset:3136
	;; [unrolled: 1-line block ×3, first 2 shown]
	v_mov_b32_e32 v26, s2
	v_add_co_u32_e32 v0, vcc, s3, v0
	v_addc_co_u32_e32 v1, vcc, v1, v26, vcc
	s_movk_i32 s12, 0x1000
	v_add_co_u32_e32 v28, vcc, s12, v68
	v_addc_co_u32_e32 v29, vcc, 0, v69, vcc
	global_load_dwordx2 v[26:27], v[0:1], off
	v_mov_b32_e32 v30, s2
	v_add_co_u32_e32 v0, vcc, s3, v0
	v_addc_co_u32_e32 v1, vcc, v1, v30, vcc
	global_load_dwordx2 v[30:31], v[0:1], off
	v_mov_b32_e32 v32, s2
	;; [unrolled: 4-line block ×3, first 2 shown]
	v_add_co_u32_e32 v0, vcc, s3, v0
	v_addc_co_u32_e32 v1, vcc, v1, v34, vcc
	global_load_dwordx2 v[34:35], v[0:1], off
	global_load_dwordx2 v[36:37], v[28:29], off offset:608
	global_load_dwordx2 v[38:39], v[28:29], off offset:1392
	;; [unrolled: 1-line block ×4, first 2 shown]
	v_mov_b32_e32 v44, s2
	v_add_co_u32_e32 v0, vcc, s3, v0
	v_addc_co_u32_e32 v1, vcc, v1, v44, vcc
	global_load_dwordx2 v[44:45], v[0:1], off
	global_load_dwordx2 v[46:47], v[28:29], off offset:3744
	v_mov_b32_e32 v28, s2
	v_add_co_u32_e32 v0, vcc, s3, v0
	v_addc_co_u32_e32 v1, vcc, v1, v28, vcc
	s_movk_i32 s12, 0x2000
	v_add_co_u32_e32 v48, vcc, s12, v68
	v_addc_co_u32_e32 v49, vcc, 0, v69, vcc
	global_load_dwordx2 v[28:29], v[0:1], off
	v_mov_b32_e32 v52, s2
	v_add_co_u32_e32 v0, vcc, s3, v0
	v_addc_co_u32_e32 v1, vcc, v1, v52, vcc
	global_load_dwordx2 v[52:53], v[0:1], off
	v_mov_b32_e32 v54, s2
	;; [unrolled: 4-line block ×3, first 2 shown]
	v_add_co_u32_e32 v0, vcc, s3, v0
	v_addc_co_u32_e32 v1, vcc, v1, v56, vcc
	global_load_dwordx2 v[50:51], v[48:49], off offset:432
	global_load_dwordx2 v[56:57], v[0:1], off
	global_load_dwordx2 v[58:59], v[48:49], off offset:1216
	global_load_dwordx2 v[60:61], v[48:49], off offset:2000
	;; [unrolled: 1-line block ×3, first 2 shown]
	v_mov_b32_e32 v64, s2
	v_add_co_u32_e32 v0, vcc, s3, v0
	v_addc_co_u32_e32 v1, vcc, v1, v64, vcc
	global_load_dwordx2 v[64:65], v[0:1], off
	global_load_dwordx2 v[66:67], v[48:49], off offset:3568
	v_mov_b32_e32 v48, s2
	v_add_co_u32_e32 v0, vcc, s3, v0
	v_addc_co_u32_e32 v1, vcc, v1, v48, vcc
	v_add_co_u32_e32 v48, vcc, 0x3000, v68
	v_addc_co_u32_e32 v49, vcc, 0, v69, vcc
	global_load_dwordx2 v[0:1], v[0:1], off
	s_waitcnt vmcnt(29)
	v_mul_f32_e32 v68, v15, v7
	global_load_dwordx2 v[48:49], v[48:49], off offset:256
	v_mul_f32_e32 v7, v14, v7
	v_fmac_f32_e32 v68, v14, v6
	v_fma_f32 v69, v15, v6, -v7
	s_waitcnt vmcnt(29)
	v_mul_f32_e32 v6, v17, v9
	v_mul_f32_e32 v7, v16, v9
	v_fmac_f32_e32 v6, v16, v8
	v_fma_f32 v7, v17, v8, -v7
	ds_write2_b64 v111, v[68:69], v[6:7] offset1:98
	s_waitcnt vmcnt(28)
	v_mul_f32_e32 v6, v19, v11
	v_mul_f32_e32 v7, v18, v11
	s_waitcnt vmcnt(24)
	v_mul_f32_e32 v8, v21, v13
	v_mul_f32_e32 v9, v20, v13
	v_fmac_f32_e32 v6, v18, v10
	v_fma_f32 v7, v19, v10, -v7
	v_fmac_f32_e32 v8, v20, v12
	v_fma_f32 v9, v21, v12, -v9
	v_add_u32_e32 v10, 0x400, v111
	ds_write2_b64 v10, v[6:7], v[8:9] offset0:68 offset1:166
	s_waitcnt vmcnt(23)
	v_mul_f32_e32 v6, v3, v23
	v_fmac_f32_e32 v6, v2, v22
	v_mul_f32_e32 v2, v2, v23
	v_fma_f32 v7, v3, v22, -v2
	s_waitcnt vmcnt(22)
	v_mul_f32_e32 v2, v5, v25
	v_mul_f32_e32 v3, v4, v25
	v_fmac_f32_e32 v2, v4, v24
	v_fma_f32 v3, v5, v24, -v3
	v_add_u32_e32 v4, 0x800, v111
	ds_write2_b64 v4, v[6:7], v[2:3] offset0:136 offset1:234
	s_waitcnt vmcnt(17)
	v_mul_f32_e32 v2, v27, v37
	v_mul_f32_e32 v3, v26, v37
	s_waitcnt vmcnt(16)
	v_mul_f32_e32 v4, v31, v39
	v_mul_f32_e32 v5, v30, v39
	v_fmac_f32_e32 v2, v26, v36
	v_fma_f32 v3, v27, v36, -v3
	v_fmac_f32_e32 v4, v30, v38
	v_fma_f32 v5, v31, v38, -v5
	v_add_u32_e32 v6, 0x1000, v111
	ds_write2_b64 v6, v[2:3], v[4:5] offset0:76 offset1:174
	s_waitcnt vmcnt(15)
	v_mul_f32_e32 v2, v33, v41
	v_mul_f32_e32 v3, v32, v41
	s_waitcnt vmcnt(14)
	v_mul_f32_e32 v4, v35, v43
	v_mul_f32_e32 v5, v34, v43
	v_fmac_f32_e32 v2, v32, v40
	v_fma_f32 v3, v33, v40, -v3
	v_fmac_f32_e32 v4, v34, v42
	v_fma_f32 v5, v35, v42, -v5
	v_add_u32_e32 v6, 0x1800, v111
	ds_write2_b64 v6, v[2:3], v[4:5] offset0:16 offset1:114
	s_waitcnt vmcnt(12)
	v_mul_f32_e32 v2, v45, v47
	v_mul_f32_e32 v3, v44, v47
	v_fmac_f32_e32 v2, v44, v46
	v_fma_f32 v3, v45, v46, -v3
	v_add_u32_e32 v6, 0x1c00, v111
	s_waitcnt vmcnt(8)
	v_mul_f32_e32 v4, v29, v51
	v_mul_f32_e32 v5, v28, v51
	v_fmac_f32_e32 v4, v28, v50
	v_fma_f32 v5, v29, v50, -v5
	ds_write2_b64 v6, v[2:3], v[4:5] offset0:84 offset1:182
	s_waitcnt vmcnt(6)
	v_mul_f32_e32 v2, v53, v59
	v_mul_f32_e32 v3, v52, v59
	s_waitcnt vmcnt(5)
	v_mul_f32_e32 v4, v55, v61
	v_mul_f32_e32 v5, v54, v61
	v_fmac_f32_e32 v2, v52, v58
	v_fma_f32 v3, v53, v58, -v3
	v_fmac_f32_e32 v4, v54, v60
	v_fma_f32 v5, v55, v60, -v5
	v_add_u32_e32 v6, 0x2000, v111
	ds_write2_b64 v6, v[2:3], v[4:5] offset0:152 offset1:250
	s_waitcnt vmcnt(4)
	v_mul_f32_e32 v2, v57, v63
	v_mul_f32_e32 v3, v56, v63
	s_waitcnt vmcnt(2)
	v_mul_f32_e32 v4, v65, v67
	v_mul_f32_e32 v5, v64, v67
	v_fmac_f32_e32 v2, v56, v62
	v_fma_f32 v3, v57, v62, -v3
	v_fmac_f32_e32 v4, v64, v66
	v_fma_f32 v5, v65, v66, -v5
	v_add_u32_e32 v6, 0x2800, v111
	ds_write2_b64 v6, v[2:3], v[4:5] offset0:92 offset1:190
	s_waitcnt vmcnt(0)
	v_mul_f32_e32 v2, v1, v49
	v_fmac_f32_e32 v2, v0, v48
	v_mul_f32_e32 v0, v0, v49
	v_fma_f32 v3, v1, v48, -v0
	ds_write_b64 v111, v[2:3] offset:12544
.LBB0_3:
	s_or_b64 exec, exec, s[6:7]
	s_load_dwordx2 s[6:7], s[4:5], 0x20
	s_load_dwordx2 s[2:3], s[4:5], 0x8
	v_mov_b32_e32 v4, 0
	v_mov_b32_e32 v5, 0
	s_waitcnt lgkmcnt(0)
	s_barrier
	s_waitcnt lgkmcnt(0)
                                        ; implicit-def: $vgpr22
                                        ; implicit-def: $vgpr32
                                        ; implicit-def: $vgpr36
                                        ; implicit-def: $vgpr30
                                        ; implicit-def: $vgpr26
                                        ; implicit-def: $vgpr18
                                        ; implicit-def: $vgpr14
                                        ; implicit-def: $vgpr10
	s_and_saveexec_b64 s[4:5], s[0:1]
	s_cbranch_execz .LBB0_5
; %bb.4:
	v_add_u32_e32 v0, 0x400, v111
	ds_read2_b64 v[8:11], v0 offset0:68 offset1:166
	v_add_u32_e32 v0, 0x800, v111
	ds_read2_b64 v[12:15], v0 offset0:136 offset1:234
	;; [unrolled: 2-line block ×6, first 2 shown]
	v_add_u32_e32 v0, 0x2800, v111
	ds_read2_b64 v[4:7], v111 offset1:98
	ds_read2_b64 v[32:35], v0 offset0:92 offset1:190
	ds_read_b64 v[36:37], v111 offset:12544
.LBB0_5:
	s_or_b64 exec, exec, s[4:5]
	s_waitcnt lgkmcnt(0)
	v_sub_f32_e32 v89, v7, v37
	v_mul_f32_e32 v50, 0xbeb8f4ab, v89
	v_sub_f32_e32 v96, v9, v35
	v_add_f32_e32 v44, v36, v6
	v_sub_f32_e32 v98, v6, v36
	v_mov_b32_e32 v0, v50
	v_mul_f32_e32 v53, 0xbf2c7751, v96
	v_add_f32_e32 v45, v37, v7
	s_mov_b32 s12, 0x3f6eb680
	v_mul_f32_e32 v55, 0xbeb8f4ab, v98
	v_fmac_f32_e32 v0, 0x3f6eb680, v44
	v_add_f32_e32 v46, v34, v8
	v_sub_f32_e32 v104, v8, v34
	v_mov_b32_e32 v40, v53
	v_add_f32_e32 v0, v0, v4
	v_fma_f32 v1, v45, s12, -v55
	s_mov_b32 s13, 0x3f3d2fb0
	v_mul_f32_e32 v64, 0xbf2c7751, v89
	v_add_f32_e32 v47, v35, v9
	v_mul_f32_e32 v59, 0xbf2c7751, v104
	v_fmac_f32_e32 v40, 0x3f3d2fb0, v46
	v_add_f32_e32 v1, v1, v5
	v_mov_b32_e32 v2, v64
	v_add_f32_e32 v0, v40, v0
	v_fma_f32 v40, v47, s13, -v59
	v_mul_f32_e32 v69, 0xbf7ee86f, v96
	v_mul_f32_e32 v70, 0xbf2c7751, v98
	v_fmac_f32_e32 v2, 0x3f3d2fb0, v44
	v_add_f32_e32 v1, v40, v1
	v_mov_b32_e32 v40, v69
	v_add_f32_e32 v2, v2, v4
	v_fma_f32 v3, v45, s13, -v70
	v_mul_f32_e32 v77, 0xbf65296c, v89
	s_mov_b32 s16, 0x3dbcf732
	v_mul_f32_e32 v75, 0xbf7ee86f, v104
	v_fmac_f32_e32 v40, 0x3dbcf732, v46
	v_add_f32_e32 v3, v3, v5
	v_mov_b32_e32 v38, v77
	v_add_f32_e32 v2, v40, v2
	v_fma_f32 v40, v47, s16, -v75
	v_mul_f32_e32 v85, 0xbf4c4adb, v96
	s_mov_b32 s14, 0x3ee437d1
	v_mul_f32_e32 v86, 0xbf65296c, v98
	v_fmac_f32_e32 v38, 0x3ee437d1, v44
	v_add_f32_e32 v3, v40, v3
	v_mov_b32_e32 v40, v85
	v_add_f32_e32 v38, v38, v4
	v_fma_f32 v39, v45, s14, -v86
	s_mov_b32 s15, 0xbf1a4643
	v_mul_f32_e32 v94, 0xbf4c4adb, v104
	v_fmac_f32_e32 v40, 0xbf1a4643, v46
	v_sub_f32_e32 v102, v11, v33
	v_add_f32_e32 v39, v39, v5
	v_add_f32_e32 v38, v40, v38
	v_fma_f32 v40, v47, s15, -v94
	v_mul_f32_e32 v58, 0xbf65296c, v102
	v_add_f32_e32 v39, v40, v39
	v_add_f32_e32 v48, v32, v10
	v_sub_f32_e32 v109, v10, v32
	v_mov_b32_e32 v40, v58
	v_add_f32_e32 v49, v33, v11
	v_mul_f32_e32 v62, 0xbf65296c, v109
	v_fmac_f32_e32 v40, 0x3ee437d1, v48
	v_add_f32_e32 v0, v40, v0
	v_fma_f32 v40, v49, s14, -v62
	v_mul_f32_e32 v74, 0xbf4c4adb, v102
	v_add_f32_e32 v1, v40, v1
	v_mov_b32_e32 v40, v74
	v_mul_f32_e32 v83, 0xbf4c4adb, v109
	v_fmac_f32_e32 v40, 0xbf1a4643, v48
	v_add_f32_e32 v2, v40, v2
	v_fma_f32 v40, v49, s15, -v83
	v_mul_f32_e32 v92, 0x3e3c28d5, v102
	v_add_f32_e32 v3, v40, v3
	v_mov_b32_e32 v40, v92
	s_mov_b32 s17, 0xbf7ba420
	v_mul_f32_e32 v100, 0x3e3c28d5, v109
	v_fmac_f32_e32 v40, 0xbf7ba420, v48
	v_sub_f32_e32 v108, v13, v23
	v_add_f32_e32 v38, v40, v38
	v_fma_f32 v40, v49, s17, -v100
	v_mul_f32_e32 v63, 0xbf7ee86f, v108
	v_add_f32_e32 v39, v40, v39
	v_add_f32_e32 v51, v22, v12
	v_sub_f32_e32 v116, v12, v22
	v_mov_b32_e32 v40, v63
	v_add_f32_e32 v52, v23, v13
	v_mul_f32_e32 v67, 0xbf7ee86f, v116
	v_fmac_f32_e32 v40, 0x3dbcf732, v51
	v_add_f32_e32 v0, v40, v0
	v_fma_f32 v40, v52, s16, -v67
	v_mul_f32_e32 v78, 0xbe3c28d5, v108
	v_add_f32_e32 v1, v40, v1
	v_mov_b32_e32 v40, v78
	v_mul_f32_e32 v90, 0xbe3c28d5, v116
	v_fmac_f32_e32 v40, 0xbf7ba420, v51
	v_add_f32_e32 v2, v40, v2
	v_fma_f32 v40, v52, s17, -v90
	v_mul_f32_e32 v99, 0x3f763a35, v108
	v_add_f32_e32 v3, v40, v3
	v_mov_b32_e32 v40, v99
	s_mov_b32 s18, 0xbe8c1d8e
	v_mul_f32_e32 v106, 0x3f763a35, v116
	v_fmac_f32_e32 v40, 0xbe8c1d8e, v51
	v_sub_f32_e32 v115, v15, v21
	v_add_f32_e32 v38, v40, v38
	v_fma_f32 v40, v52, s18, -v106
	v_mul_f32_e32 v68, 0xbf763a35, v115
	v_add_f32_e32 v39, v40, v39
	v_add_f32_e32 v54, v20, v14
	v_sub_f32_e32 v120, v14, v20
	v_mov_b32_e32 v40, v68
	v_add_f32_e32 v56, v21, v15
	v_mul_f32_e32 v72, 0xbf763a35, v120
	v_fmac_f32_e32 v40, 0xbe8c1d8e, v54
	v_add_f32_e32 v0, v40, v0
	v_fma_f32 v40, v56, s18, -v72
	v_mul_f32_e32 v87, 0x3f06c442, v115
	v_add_f32_e32 v1, v40, v1
	v_mov_b32_e32 v40, v87
	s_mov_b32 s19, 0xbf59a7d5
	v_mul_f32_e32 v95, 0x3f06c442, v120
	v_fmac_f32_e32 v40, 0xbf59a7d5, v54
	v_add_f32_e32 v2, v40, v2
	v_fma_f32 v40, v56, s19, -v95
	v_mul_f32_e32 v105, 0x3f2c7751, v115
	v_add_f32_e32 v3, v40, v3
	v_mov_b32_e32 v40, v105
	v_mul_f32_e32 v113, 0x3f2c7751, v120
	v_fmac_f32_e32 v40, 0x3f3d2fb0, v54
	v_sub_f32_e32 v119, v17, v31
	v_add_f32_e32 v38, v40, v38
	v_fma_f32 v40, v56, s13, -v113
	v_mul_f32_e32 v73, 0xbf4c4adb, v119
	v_add_f32_e32 v39, v40, v39
	v_add_f32_e32 v57, v30, v16
	v_sub_f32_e32 v124, v16, v30
	v_mov_b32_e32 v40, v73
	v_add_f32_e32 v61, v31, v17
	v_mul_f32_e32 v76, 0xbf4c4adb, v124
	v_fmac_f32_e32 v40, 0xbf1a4643, v57
	v_add_f32_e32 v0, v40, v0
	v_fma_f32 v40, v61, s15, -v76
	v_mul_f32_e32 v93, 0x3f763a35, v119
	v_add_f32_e32 v1, v40, v1
	v_mov_b32_e32 v40, v93
	v_mul_f32_e32 v101, 0x3f763a35, v124
	v_fmac_f32_e32 v40, 0xbe8c1d8e, v57
	v_add_f32_e32 v2, v40, v2
	v_fma_f32 v40, v61, s18, -v101
	v_mul_f32_e32 v110, 0xbeb8f4ab, v119
	v_add_f32_e32 v3, v40, v3
	v_mov_b32_e32 v40, v110
	v_mul_f32_e32 v118, 0xbeb8f4ab, v124
	v_fmac_f32_e32 v40, 0x3f6eb680, v57
	v_sub_f32_e32 v123, v19, v29
	v_add_f32_e32 v38, v40, v38
	v_fma_f32 v40, v61, s12, -v118
	v_mul_f32_e32 v79, 0xbf06c442, v123
	v_add_f32_e32 v39, v40, v39
	v_add_f32_e32 v60, v28, v18
	v_sub_f32_e32 v128, v18, v28
	v_mov_b32_e32 v40, v79
	v_add_f32_e32 v66, v29, v19
	v_mul_f32_e32 v84, 0xbf06c442, v128
	v_fmac_f32_e32 v40, 0xbf59a7d5, v60
	v_add_f32_e32 v0, v40, v0
	v_fma_f32 v40, v66, s19, -v84
	v_mul_f32_e32 v97, 0x3f65296c, v123
	v_add_f32_e32 v1, v40, v1
	v_mov_b32_e32 v40, v97
	v_mul_f32_e32 v107, 0x3f65296c, v128
	v_fmac_f32_e32 v40, 0x3ee437d1, v60
	v_add_f32_e32 v2, v40, v2
	v_fma_f32 v40, v66, s14, -v107
	v_mul_f32_e32 v117, 0xbf7ee86f, v123
	v_add_f32_e32 v3, v40, v3
	v_mov_b32_e32 v40, v117
	v_mul_f32_e32 v122, 0xbf7ee86f, v128
	v_fmac_f32_e32 v40, 0x3dbcf732, v60
	v_sub_f32_e32 v126, v25, v27
	v_add_f32_e32 v38, v40, v38
	v_fma_f32 v40, v66, s16, -v122
	v_mul_f32_e32 v88, 0xbe3c28d5, v126
	v_add_f32_e32 v39, v40, v39
	v_add_f32_e32 v65, v26, v24
	v_sub_f32_e32 v127, v24, v26
	v_mov_b32_e32 v40, v88
	v_add_f32_e32 v71, v27, v25
	v_mul_f32_e32 v91, 0xbe3c28d5, v127
	v_fmac_f32_e32 v40, 0xbf7ba420, v65
	v_add_f32_e32 v81, v40, v0
	v_fma_f32 v0, v71, s17, -v91
	v_mul_f32_e32 v103, 0x3eb8f4ab, v126
	v_add_f32_e32 v82, v0, v1
	v_mov_b32_e32 v0, v103
	v_mul_f32_e32 v114, 0x3eb8f4ab, v127
	v_fmac_f32_e32 v0, 0x3f6eb680, v65
	v_add_f32_e32 v2, v0, v2
	v_fma_f32 v0, v71, s12, -v114
	v_mul_f32_e32 v121, 0xbf06c442, v126
	v_add_f32_e32 v3, v0, v3
	v_mul_f32_e32 v125, 0xbf06c442, v127
	v_mov_b32_e32 v0, v121
	v_fmac_f32_e32 v0, 0xbf59a7d5, v65
	v_fma_f32 v1, v71, s19, -v125
	v_add_f32_e32 v0, v0, v38
	v_add_f32_e32 v1, v1, v39
	s_barrier
	s_and_saveexec_b64 s[4:5], s[0:1]
	s_cbranch_execz .LBB0_7
; %bb.6:
	v_mul_f32_e32 v137, 0xbe8c1d8e, v45
	v_mov_b32_e32 v38, v137
	v_mul_f32_e32 v138, 0xbf59a7d5, v47
	v_fmac_f32_e32 v38, 0x3f763a35, v98
	v_mov_b32_e32 v39, v138
	v_add_f32_e32 v38, v38, v5
	v_fmac_f32_e32 v39, 0xbf06c442, v104
	v_mul_f32_e32 v139, 0x3f3d2fb0, v49
	v_add_f32_e32 v38, v39, v38
	v_mov_b32_e32 v39, v139
	v_fmac_f32_e32 v39, 0xbf2c7751, v109
	v_mul_f32_e32 v140, 0x3ee437d1, v52
	v_add_f32_e32 v38, v39, v38
	v_mov_b32_e32 v39, v140
	v_fmac_f32_e32 v39, 0x3f65296c, v116
	v_mul_f32_e32 v141, 0xbf7ba420, v56
	v_add_f32_e32 v38, v39, v38
	v_mov_b32_e32 v39, v141
	v_fmac_f32_e32 v39, 0x3e3c28d5, v120
	v_mul_f32_e32 v142, 0x3dbcf732, v61
	v_add_f32_e32 v38, v39, v38
	v_mov_b32_e32 v39, v142
	v_fmac_f32_e32 v39, 0xbf7ee86f, v124
	v_mul_f32_e32 v143, 0x3f6eb680, v66
	v_add_f32_e32 v38, v39, v38
	v_mov_b32_e32 v39, v143
	v_fmac_f32_e32 v39, 0x3eb8f4ab, v128
	v_mul_f32_e32 v144, 0xbf763a35, v89
	v_add_f32_e32 v38, v39, v38
	v_mov_b32_e32 v39, v144
	v_mul_f32_e32 v145, 0x3f06c442, v96
	v_fmac_f32_e32 v39, 0xbe8c1d8e, v44
	v_mov_b32_e32 v40, v145
	v_add_f32_e32 v39, v39, v4
	v_fmac_f32_e32 v40, 0xbf59a7d5, v46
	v_mul_f32_e32 v146, 0x3f2c7751, v102
	v_add_f32_e32 v39, v40, v39
	v_mov_b32_e32 v40, v146
	v_fmac_f32_e32 v40, 0x3f3d2fb0, v48
	v_mul_f32_e32 v147, 0xbf65296c, v108
	v_add_f32_e32 v39, v40, v39
	v_mov_b32_e32 v40, v147
	v_fmac_f32_e32 v40, 0x3ee437d1, v51
	v_mul_f32_e32 v148, 0xbe3c28d5, v115
	v_add_f32_e32 v39, v40, v39
	v_mov_b32_e32 v40, v148
	v_fmac_f32_e32 v40, 0xbf7ba420, v54
	v_mul_f32_e32 v149, 0x3f7ee86f, v119
	v_add_f32_e32 v39, v40, v39
	v_mov_b32_e32 v40, v149
	v_fmac_f32_e32 v40, 0x3dbcf732, v57
	v_mul_f32_e32 v150, 0xbeb8f4ab, v123
	v_add_f32_e32 v39, v40, v39
	v_mov_b32_e32 v40, v150
	v_fmac_f32_e32 v40, 0x3f6eb680, v60
	v_mul_f32_e32 v151, 0xbf1a4643, v71
	v_add_f32_e32 v40, v40, v39
	v_mov_b32_e32 v39, v151
	v_fmac_f32_e32 v39, 0x3f4c4adb, v127
	v_mul_f32_e32 v152, 0xbf4c4adb, v126
	v_add_f32_e32 v39, v39, v38
	v_mov_b32_e32 v38, v152
	v_fmac_f32_e32 v38, 0xbf1a4643, v65
	v_mul_f32_e32 v135, 0xbf1a4643, v45
	v_add_f32_e32 v38, v38, v40
	v_mov_b32_e32 v40, v135
	v_mul_f32_e32 v136, 0xbe8c1d8e, v47
	v_fmac_f32_e32 v40, 0x3f4c4adb, v98
	v_mov_b32_e32 v41, v136
	v_add_f32_e32 v40, v40, v5
	v_fmac_f32_e32 v41, 0xbf763a35, v104
	v_mul_f32_e32 v153, 0x3f6eb680, v49
	v_add_f32_e32 v40, v41, v40
	v_mov_b32_e32 v41, v153
	v_fmac_f32_e32 v41, 0x3eb8f4ab, v109
	v_mul_f32_e32 v154, 0xbf59a7d5, v52
	v_add_f32_e32 v40, v41, v40
	v_mov_b32_e32 v41, v154
	v_fmac_f32_e32 v41, 0x3f06c442, v116
	v_mul_f32_e32 v155, 0x3dbcf732, v56
	v_add_f32_e32 v40, v41, v40
	v_mov_b32_e32 v41, v155
	v_fmac_f32_e32 v41, 0xbf7ee86f, v120
	v_mul_f32_e32 v156, 0x3f3d2fb0, v61
	v_add_f32_e32 v40, v41, v40
	v_mov_b32_e32 v41, v156
	v_fmac_f32_e32 v41, 0x3f2c7751, v124
	v_mul_f32_e32 v157, 0xbf7ba420, v66
	v_add_f32_e32 v40, v41, v40
	v_mov_b32_e32 v41, v157
	v_fmac_f32_e32 v41, 0x3e3c28d5, v128
	v_mul_f32_e32 v158, 0xbf4c4adb, v89
	v_add_f32_e32 v40, v41, v40
	v_mov_b32_e32 v41, v158
	v_mul_f32_e32 v159, 0x3f763a35, v96
	v_fmac_f32_e32 v41, 0xbf1a4643, v44
	v_mov_b32_e32 v42, v159
	v_add_f32_e32 v41, v41, v4
	v_fmac_f32_e32 v42, 0xbe8c1d8e, v46
	v_mul_f32_e32 v160, 0xbeb8f4ab, v102
	v_add_f32_e32 v41, v42, v41
	v_mov_b32_e32 v42, v160
	v_fmac_f32_e32 v42, 0x3f6eb680, v48
	v_mul_f32_e32 v161, 0xbf06c442, v108
	v_add_f32_e32 v41, v42, v41
	v_mov_b32_e32 v42, v161
	v_fmac_f32_e32 v42, 0xbf59a7d5, v51
	v_mul_f32_e32 v162, 0x3f7ee86f, v115
	v_add_f32_e32 v41, v42, v41
	v_mov_b32_e32 v42, v162
	v_fmac_f32_e32 v42, 0x3dbcf732, v54
	v_mul_f32_e32 v163, 0xbf2c7751, v119
	v_add_f32_e32 v41, v42, v41
	v_mov_b32_e32 v42, v163
	v_fmac_f32_e32 v42, 0x3f3d2fb0, v57
	v_mul_f32_e32 v164, 0xbe3c28d5, v123
	v_add_f32_e32 v41, v42, v41
	v_mov_b32_e32 v42, v164
	v_fmac_f32_e32 v42, 0xbf7ba420, v60
	v_mul_f32_e32 v165, 0x3ee437d1, v71
	v_add_f32_e32 v42, v42, v41
	v_mov_b32_e32 v41, v165
	v_fmac_f32_e32 v41, 0xbf65296c, v127
	v_mul_f32_e32 v166, 0x3f65296c, v126
	v_add_f32_e32 v41, v41, v40
	v_mov_b32_e32 v40, v166
	v_fmac_f32_e32 v40, 0x3ee437d1, v65
	v_mul_f32_e32 v133, 0xbf59a7d5, v45
	v_add_f32_e32 v40, v40, v42
	;; [unrolled: 64-line block ×3, first 2 shown]
	v_mov_b32_e32 v129, v131
	v_mul_f32_e32 v132, 0x3f6eb680, v47
	v_fmac_f32_e32 v129, 0x3e3c28d5, v98
	v_mov_b32_e32 v130, v132
	v_fmac_f32_e32 v137, 0xbf763a35, v98
	v_add_f32_e32 v129, v129, v5
	v_fmac_f32_e32 v130, 0xbeb8f4ab, v104
	v_mul_f32_e32 v181, 0xbf59a7d5, v49
	v_add_f32_e32 v137, v137, v5
	v_fmac_f32_e32 v138, 0x3f06c442, v104
	v_add_f32_e32 v129, v130, v129
	v_mov_b32_e32 v130, v181
	v_add_f32_e32 v137, v138, v137
	v_fmac_f32_e32 v139, 0x3f2c7751, v109
	v_fma_f32 v138, v44, s18, -v144
	v_fmac_f32_e32 v130, 0x3f06c442, v109
	v_mul_f32_e32 v182, 0x3f3d2fb0, v52
	v_add_f32_e32 v137, v139, v137
	v_add_f32_e32 v138, v138, v4
	v_fma_f32 v139, v46, s19, -v145
	v_add_f32_e32 v129, v130, v129
	v_mov_b32_e32 v130, v182
	v_fmac_f32_e32 v140, 0xbf65296c, v116
	v_add_f32_e32 v138, v139, v138
	v_fma_f32 v139, v48, s13, -v146
	v_fmac_f32_e32 v130, 0xbf2c7751, v116
	v_mul_f32_e32 v183, 0xbf1a4643, v56
	v_add_f32_e32 v137, v140, v137
	v_fmac_f32_e32 v141, 0xbe3c28d5, v120
	v_add_f32_e32 v138, v139, v138
	v_fma_f32 v139, v51, s14, -v147
	v_add_f32_e32 v129, v130, v129
	v_mov_b32_e32 v130, v183
	v_add_f32_e32 v137, v141, v137
	v_fmac_f32_e32 v142, 0x3f7ee86f, v124
	v_add_f32_e32 v138, v139, v138
	v_fma_f32 v139, v54, s17, -v148
	v_fmac_f32_e32 v130, 0x3f4c4adb, v120
	v_mul_f32_e32 v184, 0x3ee437d1, v61
	v_add_f32_e32 v137, v142, v137
	v_fmac_f32_e32 v143, 0xbeb8f4ab, v128
	v_add_f32_e32 v138, v139, v138
	v_fma_f32 v139, v57, s16, -v149
	v_add_f32_e32 v129, v130, v129
	v_mov_b32_e32 v130, v184
	v_add_f32_e32 v137, v143, v137
	v_add_f32_e32 v138, v139, v138
	v_fma_f32 v139, v60, s12, -v150
	v_fmac_f32_e32 v151, 0xbf4c4adb, v127
	v_fmac_f32_e32 v130, 0xbf65296c, v124
	v_mul_f32_e32 v185, 0xbe8c1d8e, v66
	v_fmac_f32_e32 v131, 0xbe3c28d5, v98
	v_fmac_f32_e32 v133, 0xbf06c442, v98
	;; [unrolled: 1-line block ×3, first 2 shown]
	v_add_f32_e32 v139, v139, v138
	v_add_f32_e32 v138, v151, v137
	v_fma_f32 v137, v65, s15, -v152
	v_mul_f32_e32 v98, 0xbf7ee86f, v98
	v_add_f32_e32 v129, v130, v129
	v_mov_b32_e32 v130, v185
	v_fmac_f32_e32 v132, 0x3eb8f4ab, v104
	v_fmac_f32_e32 v134, 0x3f65296c, v104
	;; [unrolled: 1-line block ×3, first 2 shown]
	v_add_f32_e32 v137, v137, v139
	v_mov_b32_e32 v139, v98
	v_mul_f32_e32 v104, 0xbe3c28d5, v104
	v_fmac_f32_e32 v130, 0x3f763a35, v128
	v_mul_f32_e32 v186, 0xbe3c28d5, v89
	v_fmac_f32_e32 v139, 0x3dbcf732, v45
	v_mov_b32_e32 v140, v104
	v_add_f32_e32 v129, v130, v129
	v_mov_b32_e32 v130, v186
	v_mul_f32_e32 v187, 0x3eb8f4ab, v96
	v_add_f32_e32 v139, v139, v5
	v_fmac_f32_e32 v140, 0xbf7ba420, v47
	v_fmac_f32_e32 v130, 0xbf7ba420, v44
	v_mov_b32_e32 v188, v187
	v_add_f32_e32 v139, v140, v139
	v_mul_f32_e32 v140, 0x3f763a35, v109
	v_add_f32_e32 v130, v130, v4
	v_fmac_f32_e32 v188, 0x3f6eb680, v46
	v_fmac_f32_e32 v181, 0xbf06c442, v109
	;; [unrolled: 1-line block ×4, first 2 shown]
	v_mov_b32_e32 v109, v140
	v_add_f32_e32 v130, v188, v130
	v_mul_f32_e32 v188, 0xbf06c442, v102
	v_fmac_f32_e32 v182, 0x3f2c7751, v116
	v_fmac_f32_e32 v168, 0x3f4c4adb, v116
	;; [unrolled: 1-line block ×4, first 2 shown]
	v_mul_f32_e32 v116, 0x3eb8f4ab, v116
	v_mov_b32_e32 v189, v188
	v_add_f32_e32 v109, v109, v139
	v_mov_b32_e32 v139, v116
	v_fmac_f32_e32 v189, 0xbf59a7d5, v48
	v_fmac_f32_e32 v183, 0xbf4c4adb, v120
	;; [unrolled: 1-line block ×5, first 2 shown]
	v_mul_f32_e32 v120, 0xbf65296c, v120
	v_add_f32_e32 v130, v189, v130
	v_mul_f32_e32 v189, 0x3f2c7751, v108
	v_add_f32_e32 v109, v139, v109
	v_mov_b32_e32 v139, v120
	v_mov_b32_e32 v190, v189
	v_fmac_f32_e32 v184, 0x3f65296c, v124
	v_fmac_f32_e32 v170, 0xbe3c28d5, v124
	;; [unrolled: 1-line block ×4, first 2 shown]
	v_mul_f32_e32 v124, 0xbf06c442, v124
	v_fmac_f32_e32 v190, 0x3f3d2fb0, v51
	v_add_f32_e32 v109, v139, v109
	v_mov_b32_e32 v139, v124
	v_add_f32_e32 v130, v190, v130
	v_mul_f32_e32 v190, 0xbf4c4adb, v115
	v_fmac_f32_e32 v185, 0xbf763a35, v128
	v_fmac_f32_e32 v171, 0x3f2c7751, v128
	;; [unrolled: 1-line block ×4, first 2 shown]
	v_mul_f32_e32 v128, 0x3f4c4adb, v128
	v_mov_b32_e32 v191, v190
	v_add_f32_e32 v109, v139, v109
	v_mov_b32_e32 v139, v128
	v_fmac_f32_e32 v191, 0xbf1a4643, v54
	v_fmac_f32_e32 v139, 0xbf1a4643, v66
	v_mul_f32_e32 v89, 0xbf7ee86f, v89
	v_add_f32_e32 v130, v191, v130
	v_mul_f32_e32 v191, 0x3f65296c, v119
	v_add_f32_e32 v109, v139, v109
	v_fma_f32 v139, v44, s16, -v89
	v_mul_f32_e32 v96, 0xbe3c28d5, v96
	v_mov_b32_e32 v192, v191
	v_add_f32_e32 v139, v139, v4
	v_fma_f32 v141, v46, s17, -v96
	v_mul_f32_e32 v102, 0x3f763a35, v102
	v_fmac_f32_e32 v192, 0x3ee437d1, v57
	v_add_f32_e32 v139, v141, v139
	v_fma_f32 v141, v48, s18, -v102
	v_add_f32_e32 v130, v192, v130
	v_mul_f32_e32 v192, 0xbf763a35, v123
	v_add_f32_e32 v139, v141, v139
	v_mul_f32_e32 v141, 0x3eb8f4ab, v108
	v_mov_b32_e32 v193, v192
	v_fma_f32 v108, v51, s12, -v141
	v_mul_f32_e32 v115, 0xbf65296c, v115
	v_fmac_f32_e32 v193, 0xbe8c1d8e, v60
	v_mul_f32_e32 v194, 0x3dbcf732, v71
	v_add_f32_e32 v108, v108, v139
	v_fma_f32 v139, v54, s14, -v115
	v_mul_f32_e32 v119, 0xbf06c442, v119
	v_add_f32_e32 v193, v193, v130
	v_mov_b32_e32 v130, v194
	v_add_f32_e32 v108, v139, v108
	v_fma_f32 v139, v57, s19, -v119
	v_mul_f32_e32 v123, 0x3f4c4adb, v123
	v_fmac_f32_e32 v130, 0xbf7ee86f, v127
	v_fmac_f32_e32 v194, 0x3f7ee86f, v127
	;; [unrolled: 1-line block ×4, first 2 shown]
	v_add_f32_e32 v108, v139, v108
	v_fma_f32 v139, v60, s15, -v123
	v_mul_f32_e32 v127, 0x3f2c7751, v127
	v_add_f32_e32 v108, v139, v108
	v_mov_b32_e32 v139, v127
	v_mul_f32_e32 v195, 0x3f7ee86f, v126
	v_fmac_f32_e32 v139, 0x3f3d2fb0, v71
	v_mul_f32_e32 v126, 0x3f2c7751, v126
	v_add_f32_e32 v109, v139, v109
	v_fma_f32 v139, v65, s13, -v126
	v_add_f32_e32 v108, v139, v108
	v_mul_f32_e32 v139, 0x3ee437d1, v45
	v_add_f32_e32 v86, v86, v139
	v_mul_f32_e32 v139, 0xbf1a4643, v47
	v_add_f32_e32 v94, v94, v139
	v_add_f32_e32 v86, v86, v5
	;; [unrolled: 1-line block ×3, first 2 shown]
	v_mul_f32_e32 v94, 0xbf7ba420, v49
	v_add_f32_e32 v94, v100, v94
	v_mul_f32_e32 v100, 0x3ee437d1, v44
	v_sub_f32_e32 v77, v100, v77
	v_mul_f32_e32 v100, 0xbf1a4643, v46
	v_sub_f32_e32 v85, v100, v85
	v_add_f32_e32 v77, v77, v4
	v_add_f32_e32 v77, v85, v77
	v_mul_f32_e32 v85, 0xbf7ba420, v48
	v_sub_f32_e32 v85, v85, v92
	v_add_f32_e32 v77, v85, v77
	v_mul_f32_e32 v85, 0xbe8c1d8e, v51
	v_sub_f32_e32 v85, v85, v99
	;; [unrolled: 3-line block ×6, first 2 shown]
	v_add_f32_e32 v85, v85, v77
	v_mul_f32_e32 v77, 0x3f3d2fb0, v45
	v_add_f32_e32 v70, v70, v77
	v_mul_f32_e32 v77, 0x3dbcf732, v47
	;; [unrolled: 2-line block ×3, first 2 shown]
	v_sub_f32_e32 v64, v77, v64
	v_mul_f32_e32 v77, 0x3dbcf732, v46
	v_add_f32_e32 v70, v70, v5
	v_sub_f32_e32 v69, v77, v69
	v_add_f32_e32 v64, v64, v4
	v_add_f32_e32 v70, v75, v70
	v_mul_f32_e32 v75, 0xbf1a4643, v49
	v_add_f32_e32 v64, v69, v64
	v_mul_f32_e32 v69, 0xbf1a4643, v48
	v_add_f32_e32 v75, v83, v75
	v_sub_f32_e32 v69, v69, v74
	v_add_f32_e32 v70, v75, v70
	v_mul_f32_e32 v75, 0xbf7ba420, v52
	v_add_f32_e32 v64, v69, v64
	v_mul_f32_e32 v69, 0xbf7ba420, v51
	v_add_f32_e32 v75, v90, v75
	v_sub_f32_e32 v69, v69, v78
	v_add_f32_e32 v70, v75, v70
	v_mul_f32_e32 v75, 0xbf59a7d5, v56
	v_add_f32_e32 v64, v69, v64
	v_mul_f32_e32 v69, 0xbf59a7d5, v54
	v_add_f32_e32 v7, v7, v5
	v_add_f32_e32 v6, v6, v4
	;; [unrolled: 1-line block ×3, first 2 shown]
	v_sub_f32_e32 v69, v69, v87
	v_add_f32_e32 v7, v9, v7
	v_add_f32_e32 v6, v8, v6
	;; [unrolled: 1-line block ×3, first 2 shown]
	v_mul_f32_e32 v75, 0xbe8c1d8e, v61
	v_add_f32_e32 v64, v69, v64
	v_mul_f32_e32 v69, 0xbe8c1d8e, v57
	v_add_f32_e32 v7, v11, v7
	v_add_f32_e32 v6, v10, v6
	;; [unrolled: 1-line block ×3, first 2 shown]
	v_sub_f32_e32 v69, v69, v93
	v_add_f32_e32 v7, v13, v7
	v_add_f32_e32 v6, v12, v6
	;; [unrolled: 1-line block ×3, first 2 shown]
	v_mul_f32_e32 v75, 0x3ee437d1, v66
	v_add_f32_e32 v64, v69, v64
	v_mul_f32_e32 v69, 0x3ee437d1, v60
	v_add_f32_e32 v7, v15, v7
	v_add_f32_e32 v6, v14, v6
	;; [unrolled: 1-line block ×3, first 2 shown]
	v_mul_f32_e32 v77, 0x3f6eb680, v45
	v_sub_f32_e32 v69, v69, v97
	v_add_f32_e32 v7, v17, v7
	v_add_f32_e32 v6, v16, v6
	;; [unrolled: 1-line block ×3, first 2 shown]
	v_mul_f32_e32 v94, 0xbe8c1d8e, v52
	v_add_f32_e32 v70, v75, v70
	v_mul_f32_e32 v75, 0x3f6eb680, v71
	v_mul_f32_e32 v74, 0x3f6eb680, v44
	v_add_f32_e32 v64, v69, v64
	v_mul_f32_e32 v69, 0x3f6eb680, v65
	v_add_f32_e32 v55, v55, v77
	v_add_f32_e32 v7, v19, v7
	;; [unrolled: 1-line block ×3, first 2 shown]
	v_fma_f32 v8, v45, s16, -v98
	v_add_f32_e32 v131, v131, v5
	v_add_f32_e32 v133, v133, v5
	;; [unrolled: 1-line block ×5, first 2 shown]
	v_mul_f32_e32 v78, 0x3f3d2fb0, v46
	v_sub_f32_e32 v69, v69, v103
	v_mul_f32_e32 v83, 0x3f3d2fb0, v47
	v_add_f32_e32 v55, v55, v5
	v_sub_f32_e32 v50, v74, v50
	v_add_f32_e32 v7, v25, v7
	v_add_f32_e32 v6, v24, v6
	;; [unrolled: 1-line block ×3, first 2 shown]
	v_fma_f32 v8, v47, s17, -v104
	v_add_f32_e32 v131, v132, v131
	v_fma_f32 v132, v44, s17, -v186
	v_add_f32_e32 v133, v134, v133
	;; [unrolled: 2-line block ×4, first 2 shown]
	v_mul_f32_e32 v94, 0x3f3d2fb0, v56
	v_add_f32_e32 v70, v75, v70
	v_add_f32_e32 v69, v69, v64
	v_mul_f32_e32 v64, 0x3ee437d1, v48
	v_mul_f32_e32 v75, 0x3ee437d1, v49
	v_add_f32_e32 v59, v59, v83
	v_add_f32_e32 v50, v50, v4
	v_sub_f32_e32 v53, v78, v53
	v_add_f32_e32 v7, v27, v7
	v_add_f32_e32 v6, v26, v6
	;; [unrolled: 1-line block ×3, first 2 shown]
	v_fma_f32 v8, v49, s18, -v140
	v_fmac_f32_e32 v89, 0x3dbcf732, v44
	v_add_f32_e32 v131, v181, v131
	v_add_f32_e32 v132, v132, v4
	v_fma_f32 v181, v46, s12, -v187
	v_add_f32_e32 v133, v167, v133
	v_add_f32_e32 v134, v134, v4
	v_fma_f32 v167, v46, s14, -v173
	v_add_f32_e32 v135, v153, v135
	v_add_f32_e32 v136, v136, v4
	v_fma_f32 v153, v46, s18, -v159
	v_add_f32_e32 v94, v113, v94
	v_mul_f32_e32 v77, 0x3dbcf732, v51
	v_mul_f32_e32 v83, 0x3dbcf732, v52
	v_add_f32_e32 v55, v59, v55
	v_add_f32_e32 v59, v62, v75
	;; [unrolled: 1-line block ×3, first 2 shown]
	v_sub_f32_e32 v53, v64, v58
	v_add_f32_e32 v7, v29, v7
	v_add_f32_e32 v6, v28, v6
	;; [unrolled: 1-line block ×3, first 2 shown]
	v_fma_f32 v8, v52, s12, -v116
	v_add_f32_e32 v4, v89, v4
	v_fmac_f32_e32 v96, 0xbf7ba420, v46
	v_add_f32_e32 v132, v181, v132
	v_fma_f32 v181, v48, s19, -v188
	v_add_f32_e32 v134, v167, v134
	v_fma_f32 v167, v48, s16, -v174
	;; [unrolled: 2-line block ×3, first 2 shown]
	v_add_f32_e32 v86, v94, v86
	v_mul_f32_e32 v94, 0x3f6eb680, v61
	v_mul_f32_e32 v87, 0xbe8c1d8e, v54
	;; [unrolled: 1-line block ×3, first 2 shown]
	v_add_f32_e32 v55, v59, v55
	v_add_f32_e32 v59, v67, v83
	;; [unrolled: 1-line block ×3, first 2 shown]
	v_sub_f32_e32 v53, v77, v63
	v_add_f32_e32 v7, v31, v7
	v_add_f32_e32 v6, v30, v6
	;; [unrolled: 1-line block ×3, first 2 shown]
	v_fma_f32 v8, v56, s14, -v120
	v_add_f32_e32 v4, v96, v4
	v_fmac_f32_e32 v102, 0xbe8c1d8e, v48
	v_add_f32_e32 v131, v182, v131
	v_add_f32_e32 v132, v181, v132
	v_fma_f32 v181, v51, s13, -v189
	v_add_f32_e32 v133, v168, v133
	v_add_f32_e32 v134, v167, v134
	v_fma_f32 v167, v51, s15, -v175
	;; [unrolled: 3-line block ×3, first 2 shown]
	v_add_f32_e32 v94, v118, v94
	v_mul_f32_e32 v75, 0xbf1a4643, v57
	v_mul_f32_e32 v67, 0xbf1a4643, v61
	v_add_f32_e32 v55, v59, v55
	v_add_f32_e32 v59, v72, v62
	v_add_f32_e32 v50, v53, v50
	v_sub_f32_e32 v53, v87, v68
	v_add_f32_e32 v7, v21, v7
	v_add_f32_e32 v6, v20, v6
	v_add_f32_e32 v5, v8, v5
	v_fma_f32 v8, v61, s19, -v124
	v_add_f32_e32 v4, v102, v4
	v_fmac_f32_e32 v141, 0x3f6eb680, v51
	v_add_f32_e32 v131, v183, v131
	v_add_f32_e32 v132, v181, v132
	v_fma_f32 v181, v54, s15, -v190
	v_add_f32_e32 v133, v169, v133
	v_add_f32_e32 v134, v167, v134
	v_fma_f32 v167, v54, s12, -v176
	;; [unrolled: 3-line block ×3, first 2 shown]
	v_add_f32_e32 v86, v94, v86
	v_mul_f32_e32 v94, 0x3dbcf732, v66
	v_mul_f32_e32 v83, 0xbf59a7d5, v60
	;; [unrolled: 1-line block ×3, first 2 shown]
	v_add_f32_e32 v55, v59, v55
	v_add_f32_e32 v59, v76, v67
	;; [unrolled: 1-line block ×3, first 2 shown]
	v_sub_f32_e32 v53, v75, v73
	v_add_f32_e32 v7, v23, v7
	v_add_f32_e32 v6, v22, v6
	;; [unrolled: 1-line block ×3, first 2 shown]
	v_fma_f32 v8, v66, s15, -v128
	v_add_f32_e32 v4, v141, v4
	v_fmac_f32_e32 v115, 0x3ee437d1, v54
	v_add_f32_e32 v131, v184, v131
	v_add_f32_e32 v132, v181, v132
	v_fma_f32 v181, v57, s14, -v191
	v_add_f32_e32 v133, v170, v133
	v_add_f32_e32 v134, v167, v134
	v_fma_f32 v167, v57, s17, -v177
	;; [unrolled: 3-line block ×3, first 2 shown]
	v_add_f32_e32 v94, v122, v94
	v_mul_f32_e32 v72, 0xbf7ba420, v65
	v_mul_f32_e32 v67, 0xbf7ba420, v71
	v_add_f32_e32 v55, v59, v55
	v_add_f32_e32 v59, v84, v62
	;; [unrolled: 1-line block ×3, first 2 shown]
	v_sub_f32_e32 v53, v83, v79
	v_add_f32_e32 v7, v33, v7
	v_add_f32_e32 v6, v32, v6
	;; [unrolled: 1-line block ×3, first 2 shown]
	v_fma_f32 v8, v71, s13, -v127
	v_add_f32_e32 v4, v115, v4
	v_fmac_f32_e32 v119, 0xbf59a7d5, v57
	v_add_f32_e32 v130, v130, v129
	v_mov_b32_e32 v129, v195
	v_add_f32_e32 v131, v185, v131
	v_add_f32_e32 v132, v181, v132
	v_fma_f32 v181, v60, s18, -v192
	v_add_f32_e32 v133, v171, v133
	v_add_f32_e32 v134, v167, v134
	v_fma_f32 v167, v60, s13, -v178
	;; [unrolled: 3-line block ×3, first 2 shown]
	v_add_f32_e32 v86, v94, v86
	v_mul_f32_e32 v94, 0xbf59a7d5, v71
	v_add_f32_e32 v55, v59, v55
	v_add_f32_e32 v59, v91, v67
	;; [unrolled: 1-line block ×3, first 2 shown]
	v_sub_f32_e32 v53, v72, v88
	v_add_f32_e32 v7, v35, v7
	v_add_f32_e32 v6, v34, v6
	;; [unrolled: 1-line block ×4, first 2 shown]
	v_fmac_f32_e32 v123, 0xbf1a4643, v60
	v_mul_lo_u16_e32 v8, 17, v112
	v_fmac_f32_e32 v129, 0x3dbcf732, v65
	v_add_f32_e32 v181, v181, v132
	v_add_f32_e32 v132, v194, v131
	v_fma_f32 v131, v65, s16, -v195
	v_add_f32_e32 v167, v167, v134
	v_add_f32_e32 v134, v179, v133
	v_fma_f32 v133, v65, s18, -v180
	;; [unrolled: 3-line block ×3, first 2 shown]
	v_add_f32_e32 v94, v125, v94
	v_add_f32_e32 v59, v59, v55
	;; [unrolled: 1-line block ×6, first 2 shown]
	v_fmac_f32_e32 v126, 0x3f3d2fb0, v65
	v_lshlrev_b32_e32 v8, 3, v8
	v_add_f32_e32 v129, v129, v193
	v_add_f32_e32 v131, v131, v181
	;; [unrolled: 1-line block ×6, first 2 shown]
	ds_write2_b64 v8, v[6:7], v[58:59] offset1:1
	ds_write2_b64 v8, v[69:70], v[85:86] offset0:2 offset1:3
	ds_write2_b64 v8, v[108:109], v[137:138] offset0:4 offset1:5
	;; [unrolled: 1-line block ×7, first 2 shown]
	ds_write_b64 v8, v[81:82] offset:128
.LBB0_7:
	s_or_b64 exec, exec, s[4:5]
	s_movk_i32 s12, 0x165
	v_add_co_u32_e32 v5, vcc, s12, v112
	s_movk_i32 s12, 0x1dc
	v_add_co_u32_e32 v6, vcc, s12, v112
	;; [unrolled: 2-line block ×4, first 2 shown]
	s_movk_i32 s12, 0xf1
	v_add_u16_e32 v35, 0x77, v112
	v_add_co_u32_e32 v4, vcc, 0xee, v112
	v_mul_lo_u16_sdwa v32, v112, s12 dst_sel:DWORD dst_unused:UNUSED_PAD src0_sel:BYTE_0 src1_sel:DWORD
	v_mul_lo_u16_sdwa v36, v35, s12 dst_sel:DWORD dst_unused:UNUSED_PAD src0_sel:BYTE_0 src1_sel:DWORD
	s_mov_b32 s12, 0xf0f1
	v_lshrrev_b16_e32 v33, 12, v32
	v_mul_u32_u24_sdwa v11, v4, s12 dst_sel:DWORD dst_unused:UNUSED_PAD src0_sel:WORD_0 src1_sel:DWORD
	v_mul_lo_u16_e32 v9, 17, v33
	v_lshrrev_b32_e32 v39, 20, v11
	v_sub_u16_e32 v9, v112, v9
	v_mul_lo_u16_e32 v11, 17, v39
	v_and_b32_e32 v34, 0xff, v9
	v_lshrrev_b16_e32 v37, 12, v36
	v_sub_u16_e32 v40, v4, v11
	v_mul_u32_u24_sdwa v11, v5, s12 dst_sel:DWORD dst_unused:UNUSED_PAD src0_sel:WORD_0 src1_sel:DWORD
	v_lshlrev_b32_e32 v9, 3, v34
	v_mul_lo_u16_e32 v10, 17, v37
	v_lshlrev_b32_e32 v4, 3, v40
	v_lshrrev_b32_e32 v41, 20, v11
	s_load_dwordx4 s[4:7], s[6:7], 0x0
	s_waitcnt lgkmcnt(0)
	s_barrier
	v_sub_u16_e32 v10, v35, v10
	global_load_dwordx2 v[89:90], v9, s[2:3]
	global_load_dwordx2 v[85:86], v4, s[2:3]
	v_mul_lo_u16_e32 v9, 17, v41
	v_and_b32_e32 v38, 0xff, v10
	v_sub_u16_e32 v42, v5, v9
	v_lshlrev_b32_e32 v10, 3, v38
	v_lshlrev_b32_e32 v4, 3, v42
	global_load_dwordx2 v[87:88], v10, s[2:3]
	global_load_dwordx2 v[83:84], v4, s[2:3]
	v_mul_u32_u24_sdwa v4, v6, s12 dst_sel:DWORD dst_unused:UNUSED_PAD src0_sel:WORD_0 src1_sel:DWORD
	v_lshrrev_b32_e32 v43, 20, v4
	v_mul_u32_u24_sdwa v5, v7, s12 dst_sel:DWORD dst_unused:UNUSED_PAD src0_sel:WORD_0 src1_sel:DWORD
	v_mul_lo_u16_e32 v4, 17, v43
	v_lshrrev_b32_e32 v45, 20, v5
	v_sub_u16_e32 v44, v6, v4
	v_mul_lo_u16_e32 v5, 17, v45
	v_lshlrev_b32_e32 v4, 3, v44
	v_sub_u16_e32 v46, v7, v5
	v_mul_u32_u24_sdwa v5, v8, s12 dst_sel:DWORD dst_unused:UNUSED_PAD src0_sel:WORD_0 src1_sel:DWORD
	global_load_dwordx2 v[91:92], v4, s[2:3]
	v_lshlrev_b32_e32 v4, 3, v46
	v_lshrrev_b32_e32 v47, 20, v5
	global_load_dwordx2 v[95:96], v4, s[2:3]
	v_mul_lo_u16_e32 v4, 17, v47
	v_sub_u16_e32 v48, v8, v4
	v_lshlrev_b32_e32 v4, 3, v48
	global_load_dwordx2 v[93:94], v4, s[2:3]
	v_mov_b32_e32 v4, 3
	v_lshlrev_b32_sdwa v113, v4, v112 dst_sel:DWORD dst_unused:UNUSED_PAD src0_sel:DWORD src1_sel:WORD_0
	v_add_u32_e32 v100, 0x1400, v113
	ds_read2_b64 v[4:7], v113 offset1:119
	v_add_u32_e32 v99, 0x1c00, v113
	v_add_u32_e32 v102, 0x400, v113
	;; [unrolled: 1-line block ×5, first 2 shown]
	ds_read2_b64 v[8:11], v100 offset0:74 offset1:193
	ds_read2_b64 v[12:15], v99 offset0:56 offset1:175
	;; [unrolled: 1-line block ×6, first 2 shown]
	v_mul_lo_u16_e32 v33, 34, v33
	v_and_b32_e32 v33, 0xfe, v33
	v_add_lshl_u32 v115, v33, v34, 3
	s_waitcnt vmcnt(0) lgkmcnt(0)
	s_barrier
	s_mov_b32 s14, 0x3f3bfb3b
	s_mov_b32 s15, 0xbeae86e6
	v_mul_f32_e32 v50, v10, v90
	v_mul_f32_e32 v49, v11, v90
	;; [unrolled: 1-line block ×3, first 2 shown]
	v_fmac_f32_e32 v50, v11, v89
	v_fma_f32 v10, v10, v89, -v49
	v_fma_f32 v49, v14, v85, -v53
	v_sub_f32_e32 v10, v4, v10
	v_fma_f32 v4, v4, 2.0, -v10
	v_mul_f32_e32 v11, v21, v84
	v_fma_f32 v53, v20, v83, -v11
	v_mul_f32_e32 v51, v13, v88
	v_mul_f32_e32 v52, v12, v88
	v_fma_f32 v12, v12, v87, -v51
	v_mul_f32_e32 v51, v14, v86
	v_mul_f32_e32 v54, v20, v84
	v_fmac_f32_e32 v52, v13, v87
	v_fmac_f32_e32 v51, v15, v85
	;; [unrolled: 1-line block ×3, first 2 shown]
	v_sub_f32_e32 v12, v6, v12
	v_mul_f32_e32 v11, v23, v92
	v_fma_f32 v55, v22, v91, -v11
	v_mul_f32_e32 v56, v22, v92
	v_mul_f32_e32 v11, v29, v96
	v_fma_f32 v57, v28, v95, -v11
	v_fmac_f32_e32 v56, v23, v91
	v_mul_f32_e32 v58, v28, v96
	v_mul_f32_e32 v11, v31, v94
	v_fma_f32 v59, v30, v93, -v11
	v_sub_f32_e32 v11, v5, v50
	v_fma_f32 v5, v5, 2.0, -v11
	ds_write2_b64 v115, v[4:5], v[10:11] offset1:17
	v_mul_u32_u24_e32 v4, 34, v37
	v_add_lshl_u32 v116, v4, v38, 3
	v_mad_legacy_u16 v4, v39, 34, v40
	v_lshlrev_b32_e32 v117, 3, v4
	v_mad_legacy_u16 v4, v41, 34, v42
	v_lshlrev_b32_e32 v118, 3, v4
	;; [unrolled: 2-line block ×3, first 2 shown]
	v_mad_legacy_u16 v4, v45, 34, v46
	v_mul_f32_e32 v60, v30, v94
	v_sub_f32_e32 v23, v25, v56
	v_lshlrev_b32_e32 v120, 3, v4
	v_mad_legacy_u16 v4, v47, 34, v48
	v_lshrrev_b16_e32 v56, 13, v32
	v_fmac_f32_e32 v58, v29, v95
	v_fmac_f32_e32 v60, v31, v93
	v_lshlrev_b32_e32 v121, 3, v4
	v_mul_lo_u16_e32 v4, 34, v56
	v_sub_f32_e32 v13, v7, v52
	v_sub_f32_e32 v14, v16, v49
	;; [unrolled: 1-line block ×10, first 2 shown]
	v_sub_u16_e32 v4, v112, v4
	v_fma_f32 v6, v6, 2.0, -v12
	v_fma_f32 v7, v7, 2.0, -v13
	v_fma_f32 v16, v16, 2.0, -v14
	v_fma_f32 v17, v17, 2.0, -v15
	v_fma_f32 v18, v18, 2.0, -v20
	v_fma_f32 v19, v19, 2.0, -v21
	v_fma_f32 v24, v24, 2.0, -v22
	v_fma_f32 v25, v25, 2.0, -v23
	v_fma_f32 v26, v26, 2.0, -v28
	v_fma_f32 v27, v27, 2.0, -v29
	v_fma_f32 v8, v8, 2.0, -v30
	v_fma_f32 v9, v9, 2.0, -v31
	v_and_b32_e32 v57, 0xff, v4
	ds_write2_b64 v116, v[6:7], v[12:13] offset1:17
	ds_write2_b64 v117, v[16:17], v[14:15] offset1:17
	;; [unrolled: 1-line block ×6, first 2 shown]
	v_mad_u64_u32 v[8:9], s[12:13], v57, 48, s[2:3]
	s_waitcnt lgkmcnt(0)
	s_barrier
	global_load_dwordx4 v[12:15], v[8:9], off offset:136
	global_load_dwordx4 v[4:7], v[8:9], off offset:152
	v_lshrrev_b16_e32 v58, 13, v36
	v_mul_lo_u16_e32 v10, 34, v58
	global_load_dwordx4 v[24:27], v[8:9], off offset:168
	v_sub_u16_e32 v8, v35, v10
	v_and_b32_e32 v59, 0xff, v8
	v_mad_u64_u32 v[28:29], s[12:13], v59, 48, s[2:3]
	global_load_dwordx4 v[20:23], v[28:29], off offset:136
	global_load_dwordx4 v[16:19], v[28:29], off offset:152
	global_load_dwordx4 v[8:11], v[28:29], off offset:168
	ds_read2_b64 v[28:31], v113 offset1:119
	ds_read2_b64 v[32:35], v102 offset0:110 offset1:229
	ds_read2_b64 v[36:39], v101 offset0:92 offset1:211
	;; [unrolled: 1-line block ×6, first 2 shown]
	s_mov_b32 s12, 0x3f5ff5aa
	s_mov_b32 s13, 0xbf3bfb3b
	v_mul_u32_u24_e32 v56, 0xee, v56
	v_add_lshl_u32 v122, v56, v57, 3
	s_waitcnt vmcnt(0) lgkmcnt(0)
	s_barrier
	v_mul_f32_e32 v60, v33, v13
	v_fma_f32 v60, v32, v12, -v60
	v_mul_f32_e32 v32, v32, v13
	v_fmac_f32_e32 v32, v33, v12
	v_mul_f32_e32 v33, v37, v15
	v_fma_f32 v33, v36, v14, -v33
	v_mul_f32_e32 v36, v36, v15
	v_fmac_f32_e32 v36, v37, v14
	;; [unrolled: 4-line block ×6, first 2 shown]
	v_mul_f32_e32 v53, v35, v21
	v_fma_f32 v53, v34, v20, -v53
	v_mul_f32_e32 v61, v34, v21
	v_mul_f32_e32 v34, v39, v23
	v_fma_f32 v62, v38, v22, -v34
	v_mul_f32_e32 v34, v43, v17
	v_fma_f32 v64, v42, v16, -v34
	v_mul_f32_e32 v34, v47, v19
	v_fma_f32 v66, v46, v18, -v34
	v_mul_f32_e32 v46, v46, v19
	v_mul_f32_e32 v34, v51, v9
	;; [unrolled: 1-line block ×3, first 2 shown]
	v_fmac_f32_e32 v46, v47, v18
	v_fma_f32 v47, v50, v8, -v34
	v_mul_f32_e32 v50, v50, v9
	v_mul_f32_e32 v34, v55, v11
	v_fmac_f32_e32 v63, v39, v22
	v_mul_f32_e32 v65, v42, v17
	v_fmac_f32_e32 v50, v51, v8
	v_fma_f32 v51, v54, v10, -v34
	v_add_f32_e32 v34, v60, v49
	v_add_f32_e32 v39, v33, v45
	v_fmac_f32_e32 v61, v35, v20
	v_fmac_f32_e32 v65, v43, v16
	v_add_f32_e32 v35, v32, v52
	v_add_f32_e32 v42, v36, v48
	;; [unrolled: 1-line block ×3, first 2 shown]
	v_sub_f32_e32 v37, v41, v37
	v_add_f32_e32 v41, v39, v34
	v_sub_f32_e32 v33, v33, v45
	v_add_f32_e32 v45, v40, v44
	;; [unrolled: 2-line block ×3, first 2 shown]
	v_add_f32_e32 v41, v43, v41
	v_mul_f32_e32 v54, v54, v11
	v_sub_f32_e32 v36, v36, v48
	v_sub_f32_e32 v48, v39, v34
	v_sub_f32_e32 v34, v34, v43
	v_sub_f32_e32 v39, v43, v39
	v_add_f32_e32 v43, v45, v44
	v_add_f32_e32 v28, v28, v41
	v_fmac_f32_e32 v54, v55, v10
	v_sub_f32_e32 v38, v60, v49
	v_sub_f32_e32 v32, v32, v52
	;; [unrolled: 1-line block ×5, first 2 shown]
	v_add_f32_e32 v52, v37, v33
	v_add_f32_e32 v55, v40, v36
	v_sub_f32_e32 v60, v37, v33
	v_sub_f32_e32 v67, v40, v36
	v_add_f32_e32 v29, v29, v43
	v_mov_b32_e32 v68, v28
	v_sub_f32_e32 v37, v38, v37
	v_sub_f32_e32 v40, v32, v40
	;; [unrolled: 1-line block ×4, first 2 shown]
	v_add_f32_e32 v38, v52, v38
	v_add_f32_e32 v32, v55, v32
	v_mul_f32_e32 v34, 0x3f4a47b2, v34
	v_mul_f32_e32 v35, 0x3f4a47b2, v35
	;; [unrolled: 1-line block ×6, first 2 shown]
	v_fmac_f32_e32 v68, 0xbf955555, v41
	v_mov_b32_e32 v41, v29
	v_mul_f32_e32 v60, 0x3f5ff5aa, v33
	v_mul_f32_e32 v67, 0x3f5ff5aa, v36
	v_fmac_f32_e32 v41, 0xbf955555, v43
	v_fma_f32 v43, v48, s14, -v44
	v_fma_f32 v44, v49, s14, -v45
	;; [unrolled: 1-line block ×3, first 2 shown]
	v_fmac_f32_e32 v34, 0x3d64c772, v39
	v_fma_f32 v39, v49, s13, -v35
	v_fmac_f32_e32 v35, 0x3d64c772, v42
	v_fma_f32 v42, v33, s12, -v52
	v_fma_f32 v48, v36, s12, -v55
	v_fmac_f32_e32 v52, 0x3eae86e6, v37
	v_fmac_f32_e32 v55, 0x3eae86e6, v40
	v_fma_f32 v49, v37, s15, -v60
	v_fma_f32 v40, v40, s15, -v67
	v_add_f32_e32 v43, v43, v68
	v_add_f32_e32 v44, v44, v41
	v_fmac_f32_e32 v42, 0x3ee1c552, v38
	v_fmac_f32_e32 v48, 0x3ee1c552, v32
	v_add_f32_e32 v60, v34, v68
	v_add_f32_e32 v67, v35, v41
	;; [unrolled: 1-line block ×4, first 2 shown]
	v_fmac_f32_e32 v52, 0x3ee1c552, v38
	v_fmac_f32_e32 v55, 0x3ee1c552, v32
	;; [unrolled: 1-line block ×4, first 2 shown]
	v_sub_f32_e32 v36, v43, v48
	v_add_f32_e32 v37, v42, v44
	v_add_f32_e32 v38, v48, v43
	v_sub_f32_e32 v39, v44, v42
	v_add_f32_e32 v44, v53, v51
	v_sub_f32_e32 v48, v53, v51
	v_add_f32_e32 v51, v62, v47
	v_add_f32_e32 v32, v55, v60
	v_sub_f32_e32 v33, v67, v52
	v_add_f32_e32 v34, v40, v45
	v_sub_f32_e32 v40, v45, v40
	v_sub_f32_e32 v42, v60, v55
	v_add_f32_e32 v43, v52, v67
	v_add_f32_e32 v45, v61, v54
	;; [unrolled: 1-line block ×5, first 2 shown]
	v_sub_f32_e32 v35, v41, v49
	v_add_f32_e32 v41, v49, v41
	v_sub_f32_e32 v49, v61, v54
	v_sub_f32_e32 v47, v62, v47
	v_add_f32_e32 v54, v65, v46
	v_add_f32_e32 v61, v52, v45
	v_sub_f32_e32 v62, v51, v44
	v_sub_f32_e32 v44, v44, v53
	;; [unrolled: 1-line block ×3, first 2 shown]
	v_add_f32_e32 v53, v53, v60
	v_sub_f32_e32 v50, v63, v50
	v_sub_f32_e32 v55, v66, v64
	;; [unrolled: 1-line block ×6, first 2 shown]
	v_add_f32_e32 v54, v54, v61
	v_add_f32_e32 v30, v30, v53
	;; [unrolled: 1-line block ×4, first 2 shown]
	v_sub_f32_e32 v66, v55, v47
	v_sub_f32_e32 v67, v46, v50
	v_add_f32_e32 v31, v31, v54
	v_mov_b32_e32 v68, v30
	v_sub_f32_e32 v55, v48, v55
	v_sub_f32_e32 v46, v49, v46
	;; [unrolled: 1-line block ×4, first 2 shown]
	v_add_f32_e32 v48, v64, v48
	v_add_f32_e32 v49, v65, v49
	v_mul_f32_e32 v44, 0x3f4a47b2, v44
	v_mul_f32_e32 v45, 0x3f4a47b2, v45
	;; [unrolled: 1-line block ×6, first 2 shown]
	v_fmac_f32_e32 v68, 0xbf955555, v53
	v_mov_b32_e32 v53, v31
	ds_write2_b64 v122, v[28:29], v[32:33] offset1:34
	ds_write2_b64 v122, v[34:35], v[36:37] offset0:68 offset1:102
	ds_write2_b64 v122, v[38:39], v[40:41] offset0:136 offset1:170
	ds_write_b64 v122, v[42:43] offset:1632
	v_mad_u64_u32 v[36:37], s[2:3], v112, 48, s[2:3]
	v_mul_f32_e32 v66, 0x3f5ff5aa, v47
	v_mul_f32_e32 v67, 0x3f5ff5aa, v50
	v_fmac_f32_e32 v53, 0xbf955555, v54
	v_fma_f32 v54, v62, s14, -v60
	v_fma_f32 v60, v63, s14, -v61
	;; [unrolled: 1-line block ×3, first 2 shown]
	v_fmac_f32_e32 v44, 0x3d64c772, v51
	v_fma_f32 v51, v63, s13, -v45
	v_fmac_f32_e32 v45, 0x3d64c772, v52
	v_fma_f32 v52, v47, s12, -v64
	;; [unrolled: 2-line block ×4, first 2 shown]
	v_fma_f32 v62, v46, s15, -v67
	v_add_f32_e32 v63, v44, v68
	v_add_f32_e32 v66, v45, v53
	v_fmac_f32_e32 v64, 0x3ee1c552, v48
	v_fmac_f32_e32 v65, 0x3ee1c552, v49
	v_mul_u32_u24_e32 v28, 0xee, v58
	v_add_f32_e32 v54, v54, v68
	v_add_f32_e32 v60, v60, v53
	;; [unrolled: 1-line block ×4, first 2 shown]
	v_fmac_f32_e32 v52, 0x3ee1c552, v48
	v_fmac_f32_e32 v50, 0x3ee1c552, v49
	;; [unrolled: 1-line block ×4, first 2 shown]
	v_add_f32_e32 v44, v65, v63
	v_sub_f32_e32 v45, v66, v64
	v_add_lshl_u32 v123, v28, v59, 3
	v_add_f32_e32 v46, v62, v61
	v_sub_f32_e32 v47, v53, v55
	v_sub_f32_e32 v48, v54, v50
	v_add_f32_e32 v49, v52, v60
	v_add_f32_e32 v50, v50, v54
	v_sub_f32_e32 v51, v60, v52
	v_sub_f32_e32 v52, v61, v62
	v_add_f32_e32 v53, v55, v53
	v_sub_f32_e32 v54, v63, v65
	v_add_f32_e32 v55, v64, v66
	ds_write2_b64 v123, v[30:31], v[44:45] offset1:34
	ds_write2_b64 v123, v[46:47], v[48:49] offset0:68 offset1:102
	ds_write2_b64 v123, v[50:51], v[52:53] offset0:136 offset1:170
	ds_write_b64 v123, v[54:55] offset:1632
	s_waitcnt lgkmcnt(0)
	s_barrier
	global_load_dwordx4 v[40:43], v[36:37], off offset:1768
	global_load_dwordx4 v[32:35], v[36:37], off offset:1784
	;; [unrolled: 1-line block ×3, first 2 shown]
	s_movk_i32 s2, 0x1000
	v_add_co_u32_e32 v38, vcc, s2, v36
	v_addc_co_u32_e32 v39, vcc, 0, v37, vcc
	global_load_dwordx4 v[48:51], v[38:39], off offset:3384
	s_movk_i32 s2, 0x1d38
	v_add_co_u32_e32 v52, vcc, s2, v36
	v_addc_co_u32_e32 v53, vcc, 0, v37, vcc
	global_load_dwordx4 v[44:47], v[52:53], off offset:16
	global_load_dwordx4 v[36:39], v[52:53], off offset:32
	ds_read2_b64 v[64:67], v113 offset1:119
	ds_read2_b64 v[52:55], v102 offset0:110 offset1:229
	ds_read2_b64 v[56:59], v101 offset0:92 offset1:211
	ds_read2_b64 v[60:63], v100 offset0:74 offset1:193
	ds_read2_b64 v[68:71], v99 offset0:56 offset1:175
	ds_read2_b64 v[72:75], v98 offset0:38 offset1:157
	ds_read2_b64 v[76:79], v97 offset0:20 offset1:139
	s_waitcnt vmcnt(5) lgkmcnt(5)
	v_mul_f32_e32 v103, v53, v41
	v_fma_f32 v103, v52, v40, -v103
	v_mul_f32_e32 v52, v52, v41
	v_fmac_f32_e32 v52, v53, v40
	s_waitcnt lgkmcnt(4)
	v_mul_f32_e32 v53, v57, v43
	v_fma_f32 v53, v56, v42, -v53
	v_mul_f32_e32 v56, v56, v43
	v_fmac_f32_e32 v56, v57, v42
	s_waitcnt vmcnt(4) lgkmcnt(3)
	v_mul_f32_e32 v57, v61, v33
	v_fma_f32 v57, v60, v32, -v57
	v_mul_f32_e32 v60, v60, v33
	v_fmac_f32_e32 v60, v61, v32
	s_waitcnt lgkmcnt(2)
	v_mul_f32_e32 v61, v69, v35
	v_fma_f32 v61, v68, v34, -v61
	v_mul_f32_e32 v68, v68, v35
	v_fmac_f32_e32 v68, v69, v34
	;; [unrolled: 10-line block ×3, first 2 shown]
	s_waitcnt vmcnt(2)
	v_mul_f32_e32 v77, v55, v49
	v_fma_f32 v77, v54, v48, -v77
	v_mul_f32_e32 v104, v54, v49
	v_mul_f32_e32 v54, v59, v51
	v_fma_f32 v105, v58, v50, -v54
	s_waitcnt vmcnt(1)
	v_mul_f32_e32 v54, v63, v45
	v_fma_f32 v107, v62, v44, -v54
	v_mul_f32_e32 v54, v71, v47
	v_fma_f32 v109, v70, v46, -v54
	v_mul_f32_e32 v70, v70, v47
	s_waitcnt vmcnt(0)
	v_mul_f32_e32 v54, v75, v37
	v_mul_f32_e32 v106, v58, v51
	v_fmac_f32_e32 v70, v71, v46
	v_fma_f32 v71, v74, v36, -v54
	v_mul_f32_e32 v74, v74, v37
	v_mul_f32_e32 v54, v79, v39
	v_fmac_f32_e32 v106, v59, v50
	v_mul_f32_e32 v108, v62, v45
	v_fmac_f32_e32 v74, v75, v36
	v_fma_f32 v75, v78, v38, -v54
	v_add_f32_e32 v54, v103, v73
	v_add_f32_e32 v59, v53, v69
	v_fmac_f32_e32 v104, v55, v48
	v_fmac_f32_e32 v108, v63, v44
	v_mul_f32_e32 v78, v78, v39
	v_add_f32_e32 v55, v52, v76
	v_add_f32_e32 v62, v56, v72
	v_sub_f32_e32 v53, v53, v69
	v_sub_f32_e32 v56, v56, v72
	v_add_f32_e32 v63, v57, v61
	v_add_f32_e32 v69, v60, v68
	v_sub_f32_e32 v57, v61, v57
	v_sub_f32_e32 v60, v68, v60
	v_add_f32_e32 v61, v59, v54
	v_fmac_f32_e32 v78, v79, v38
	v_sub_f32_e32 v52, v52, v76
	v_add_f32_e32 v68, v62, v55
	v_add_f32_e32 v79, v60, v56
	;; [unrolled: 1-line block ×3, first 2 shown]
	v_sub_f32_e32 v58, v103, v73
	v_sub_f32_e32 v72, v59, v54
	;; [unrolled: 1-line block ×4, first 2 shown]
	v_add_f32_e32 v76, v57, v53
	v_sub_f32_e32 v110, v60, v56
	v_sub_f32_e32 v60, v52, v60
	;; [unrolled: 1-line block ×3, first 2 shown]
	v_add_f32_e32 v63, v69, v68
	v_add_f32_e32 v68, v79, v52
	;; [unrolled: 1-line block ×3, first 2 shown]
	v_sub_f32_e32 v73, v62, v55
	v_sub_f32_e32 v62, v69, v62
	;; [unrolled: 1-line block ×5, first 2 shown]
	v_add_f32_e32 v58, v76, v58
	v_add_f32_e32 v53, v65, v63
	v_mul_f32_e32 v76, 0xbf08b237, v110
	v_mov_b32_e32 v110, v52
	v_sub_f32_e32 v55, v55, v69
	v_mul_f32_e32 v54, 0x3f4a47b2, v54
	v_mul_f32_e32 v64, 0x3d64c772, v59
	;; [unrolled: 1-line block ×3, first 2 shown]
	v_fmac_f32_e32 v110, 0xbf955555, v61
	v_mov_b32_e32 v61, v53
	v_mul_f32_e32 v55, 0x3f4a47b2, v55
	v_mul_f32_e32 v69, 0xbf08b237, v103
	;; [unrolled: 1-line block ×4, first 2 shown]
	v_fmac_f32_e32 v61, 0xbf955555, v63
	v_fma_f32 v63, v72, s14, -v64
	v_fma_f32 v64, v73, s14, -v65
	;; [unrolled: 1-line block ×4, first 2 shown]
	v_fmac_f32_e32 v54, 0x3d64c772, v59
	v_fma_f32 v59, v73, s13, -v55
	v_fmac_f32_e32 v55, 0x3d64c772, v62
	v_fma_f32 v62, v114, s12, -v69
	v_fmac_f32_e32 v69, 0x3eae86e6, v57
	v_fmac_f32_e32 v76, 0x3eae86e6, v60
	v_fma_f32 v73, v57, s15, -v79
	v_fma_f32 v79, v60, s15, -v103
	v_add_f32_e32 v60, v63, v110
	v_fmac_f32_e32 v72, 0x3ee1c552, v68
	v_add_f32_e32 v103, v54, v110
	v_add_f32_e32 v114, v55, v61
	;; [unrolled: 1-line block ×5, first 2 shown]
	v_fmac_f32_e32 v69, 0x3ee1c552, v58
	v_fmac_f32_e32 v76, 0x3ee1c552, v68
	;; [unrolled: 1-line block ×5, first 2 shown]
	v_sub_f32_e32 v58, v60, v72
	v_add_f32_e32 v60, v72, v60
	v_add_f32_e32 v68, v77, v75
	v_sub_f32_e32 v72, v77, v75
	v_add_f32_e32 v75, v105, v71
	v_add_f32_e32 v54, v76, v103
	v_sub_f32_e32 v55, v114, v69
	v_add_f32_e32 v56, v79, v64
	v_sub_f32_e32 v57, v65, v73
	;; [unrolled: 2-line block ×3, first 2 shown]
	v_sub_f32_e32 v62, v64, v79
	v_add_f32_e32 v63, v73, v65
	v_sub_f32_e32 v64, v103, v76
	v_add_f32_e32 v65, v69, v114
	v_add_f32_e32 v69, v104, v78
	;; [unrolled: 1-line block ×5, first 2 shown]
	v_sub_f32_e32 v73, v104, v78
	v_sub_f32_e32 v71, v105, v71
	v_add_f32_e32 v78, v108, v70
	v_add_f32_e32 v104, v76, v69
	v_sub_f32_e32 v105, v75, v68
	v_sub_f32_e32 v68, v68, v77
	;; [unrolled: 1-line block ×3, first 2 shown]
	v_add_f32_e32 v77, v77, v103
	v_sub_f32_e32 v74, v106, v74
	v_sub_f32_e32 v79, v109, v107
	v_sub_f32_e32 v70, v70, v108
	v_sub_f32_e32 v106, v76, v69
	v_sub_f32_e32 v69, v69, v78
	v_sub_f32_e32 v76, v78, v76
	v_add_f32_e32 v78, v78, v104
	v_add_f32_e32 v66, v66, v77
	;; [unrolled: 1-line block ×4, first 2 shown]
	v_sub_f32_e32 v109, v79, v71
	v_sub_f32_e32 v110, v70, v74
	;; [unrolled: 1-line block ×4, first 2 shown]
	v_add_f32_e32 v67, v67, v78
	v_mov_b32_e32 v114, v66
	v_sub_f32_e32 v79, v72, v79
	v_sub_f32_e32 v70, v73, v70
	v_add_f32_e32 v72, v107, v72
	v_add_f32_e32 v73, v108, v73
	v_mul_f32_e32 v68, 0x3f4a47b2, v68
	v_mul_f32_e32 v69, 0x3f4a47b2, v69
	;; [unrolled: 1-line block ×8, first 2 shown]
	v_fmac_f32_e32 v114, 0xbf955555, v77
	v_mov_b32_e32 v77, v67
	v_fmac_f32_e32 v77, 0xbf955555, v78
	v_fma_f32 v78, v105, s14, -v103
	v_fma_f32 v103, v106, s14, -v104
	;; [unrolled: 1-line block ×3, first 2 shown]
	v_fmac_f32_e32 v68, 0x3d64c772, v75
	v_fma_f32 v75, v106, s13, -v69
	v_fmac_f32_e32 v69, 0x3d64c772, v76
	v_fma_f32 v76, v71, s12, -v107
	;; [unrolled: 2-line block ×4, first 2 shown]
	v_fma_f32 v105, v70, s15, -v110
	v_add_f32_e32 v106, v68, v114
	v_add_f32_e32 v109, v69, v77
	v_add_f32_e32 v78, v78, v114
	v_add_f32_e32 v103, v103, v77
	v_add_f32_e32 v104, v104, v114
	v_add_f32_e32 v77, v75, v77
	v_fmac_f32_e32 v107, 0x3ee1c552, v72
	v_fmac_f32_e32 v108, 0x3ee1c552, v73
	;; [unrolled: 1-line block ×6, first 2 shown]
	v_add_f32_e32 v68, v108, v106
	v_sub_f32_e32 v69, v109, v107
	v_add_f32_e32 v70, v105, v104
	v_sub_f32_e32 v71, v77, v79
	v_sub_f32_e32 v72, v78, v74
	v_add_f32_e32 v73, v76, v103
	v_add_f32_e32 v74, v74, v78
	v_sub_f32_e32 v75, v103, v76
	v_sub_f32_e32 v76, v104, v105
	v_add_f32_e32 v77, v79, v77
	v_sub_f32_e32 v78, v106, v108
	v_add_f32_e32 v79, v107, v109
	v_lshlrev_b32_e32 v114, 3, v112
	ds_write2_b64 v113, v[52:53], v[66:67] offset1:119
	ds_write2_b64 v102, v[54:55], v[68:69] offset0:110 offset1:229
	ds_write2_b64 v101, v[56:57], v[70:71] offset0:92 offset1:211
	ds_write2_b64 v100, v[58:59], v[72:73] offset0:74 offset1:193
	ds_write2_b64 v99, v[60:61], v[74:75] offset0:56 offset1:175
	ds_write2_b64 v98, v[62:63], v[76:77] offset0:38 offset1:157
	ds_write2_b64 v97, v[64:65], v[78:79] offset0:20 offset1:139
	s_waitcnt lgkmcnt(0)
	s_barrier
	s_and_saveexec_b64 s[2:3], s[0:1]
	s_cbranch_execz .LBB0_9
; %bb.8:
	v_mov_b32_e32 v97, s9
	v_add_co_u32_e32 v103, vcc, s8, v111
	v_addc_co_u32_e32 v104, vcc, 0, v97, vcc
	v_add_co_u32_e32 v97, vcc, 0x3410, v103
	v_addc_co_u32_e32 v98, vcc, 0, v104, vcc
	;; [unrolled: 2-line block ×3, first 2 shown]
	global_load_dwordx2 v[101:102], v[99:100], off offset:1040
	global_load_dwordx2 v[109:110], v[97:98], off offset:784
	global_load_dwordx2 v[132:133], v[97:98], off offset:1568
	global_load_dwordx2 v[134:135], v[97:98], off offset:2352
	global_load_dwordx2 v[136:137], v[97:98], off offset:3136
	s_movk_i32 s12, 0x4000
	v_add_co_u32_e32 v99, vcc, s12, v103
	v_addc_co_u32_e32 v100, vcc, 0, v104, vcc
	global_load_dwordx2 v[138:139], v[99:100], off offset:1648
	global_load_dwordx2 v[140:141], v[99:100], off offset:2432
	global_load_dwordx2 v[142:143], v[97:98], off offset:3920
	global_load_dwordx2 v[144:145], v[99:100], off offset:3216
	global_load_dwordx2 v[146:147], v[99:100], off offset:4000
	s_movk_i32 s12, 0x5000
	v_add_co_u32_e32 v97, vcc, s12, v103
	v_addc_co_u32_e32 v98, vcc, 0, v104, vcc
	global_load_dwordx2 v[148:149], v[97:98], off offset:688
	global_load_dwordx2 v[150:151], v[97:98], off offset:1472
	global_load_dwordx2 v[152:153], v[97:98], off offset:2256
	global_load_dwordx2 v[154:155], v[97:98], off offset:3040
	global_load_dwordx2 v[156:157], v[97:98], off offset:3824
	s_movk_i32 s12, 0x6000
	v_add_co_u32_e32 v97, vcc, s12, v103
	v_addc_co_u32_e32 v98, vcc, 0, v104, vcc
	ds_read_b64 v[99:100], v113
	global_load_dwordx2 v[158:159], v[97:98], off offset:512
	global_load_dwordx2 v[160:161], v[97:98], off offset:1296
	v_add_u32_e32 v164, 0x800, v114
	v_add_u32_e32 v165, 0xc00, v114
	;; [unrolled: 1-line block ×4, first 2 shown]
	s_waitcnt vmcnt(16) lgkmcnt(0)
	v_mul_f32_e32 v97, v100, v102
	v_mul_f32_e32 v98, v99, v102
	v_fma_f32 v97, v99, v101, -v97
	v_fmac_f32_e32 v98, v100, v101
	ds_write_b64 v113, v[97:98]
	ds_read2_b64 v[97:100], v114 offset0:98 offset1:196
	ds_read2_b64 v[101:104], v164 offset0:38 offset1:136
	;; [unrolled: 1-line block ×5, first 2 shown]
	s_waitcnt vmcnt(15) lgkmcnt(4)
	v_mul_f32_e32 v163, v97, v110
	v_mul_f32_e32 v162, v98, v110
	s_waitcnt vmcnt(14)
	v_mul_f32_e32 v168, v100, v133
	v_mul_f32_e32 v110, v99, v133
	s_waitcnt vmcnt(13) lgkmcnt(3)
	v_mul_f32_e32 v169, v102, v135
	v_mul_f32_e32 v133, v101, v135
	s_waitcnt vmcnt(12)
	v_mul_f32_e32 v170, v104, v137
	v_mul_f32_e32 v135, v103, v137
	s_waitcnt vmcnt(9) lgkmcnt(2)
	v_mul_f32_e32 v171, v106, v143
	v_mul_f32_e32 v137, v105, v143
	;; [unrolled: 1-line block ×4, first 2 shown]
	s_waitcnt lgkmcnt(1)
	v_mul_f32_e32 v173, v125, v141
	v_mul_f32_e32 v139, v124, v141
	s_waitcnt vmcnt(8)
	v_mul_f32_e32 v141, v127, v145
	v_fmac_f32_e32 v163, v98, v109
	v_mul_f32_e32 v98, v126, v145
	v_fma_f32 v162, v97, v109, -v162
	v_fma_f32 v109, v99, v132, -v168
	v_fmac_f32_e32 v110, v100, v132
	v_fma_f32 v132, v101, v134, -v169
	v_fmac_f32_e32 v133, v102, v134
	;; [unrolled: 2-line block ×7, first 2 shown]
	ds_write2_b64 v114, v[162:163], v[109:110] offset0:98 offset1:196
	ds_write2_b64 v164, v[132:133], v[134:135] offset0:38 offset1:136
	;; [unrolled: 1-line block ×4, first 2 shown]
	s_waitcnt vmcnt(7) lgkmcnt(4)
	v_mul_f32_e32 v97, v129, v147
	v_add_u32_e32 v107, 0x2000, v114
	v_fma_f32 v101, v128, v146, -v97
	ds_read2_b64 v[97:100], v107 offset0:54 offset1:152
	v_mul_f32_e32 v102, v128, v147
	s_waitcnt vmcnt(6)
	v_mul_f32_e32 v103, v131, v149
	v_mul_f32_e32 v104, v130, v149
	v_fmac_f32_e32 v102, v129, v146
	v_fma_f32 v103, v130, v148, -v103
	v_fmac_f32_e32 v104, v131, v148
	ds_write2_b64 v167, v[101:102], v[103:104] offset0:114 offset1:212
	s_waitcnt vmcnt(5) lgkmcnt(1)
	v_mul_f32_e32 v101, v98, v151
	v_add_u32_e32 v108, 0x2400, v114
	v_fma_f32 v105, v97, v150, -v101
	ds_read2_b64 v[101:104], v108 offset0:122 offset1:220
	v_mul_f32_e32 v106, v97, v151
	v_fmac_f32_e32 v106, v98, v150
	s_waitcnt vmcnt(4)
	v_mul_f32_e32 v97, v100, v153
	v_mul_f32_e32 v98, v99, v153
	v_fma_f32 v97, v99, v152, -v97
	v_fmac_f32_e32 v98, v100, v152
	ds_write2_b64 v107, v[105:106], v[97:98] offset0:54 offset1:152
	s_waitcnt vmcnt(3) lgkmcnt(1)
	v_mul_f32_e32 v97, v102, v155
	v_add_u32_e32 v107, 0x2c00, v114
	v_fma_f32 v105, v101, v154, -v97
	ds_read2_b64 v[97:100], v107 offset0:62 offset1:160
	v_mul_f32_e32 v106, v101, v155
	v_fmac_f32_e32 v106, v102, v154
	s_waitcnt vmcnt(2)
	v_mul_f32_e32 v101, v104, v157
	v_mul_f32_e32 v102, v103, v157
	v_fma_f32 v101, v103, v156, -v101
	v_fmac_f32_e32 v102, v104, v156
	ds_write2_b64 v108, v[105:106], v[101:102] offset0:122 offset1:220
	s_waitcnt vmcnt(1) lgkmcnt(1)
	v_mul_f32_e32 v101, v98, v159
	v_mul_f32_e32 v102, v97, v159
	v_fma_f32 v101, v97, v158, -v101
	v_fmac_f32_e32 v102, v98, v158
	s_waitcnt vmcnt(0)
	v_mul_f32_e32 v97, v100, v161
	v_mul_f32_e32 v98, v99, v161
	v_fma_f32 v97, v99, v160, -v97
	v_fmac_f32_e32 v98, v100, v160
	ds_write2_b64 v107, v[101:102], v[97:98] offset0:62 offset1:160
.LBB0_9:
	s_or_b64 exec, exec, s[2:3]
	s_waitcnt lgkmcnt(0)
	s_barrier
	s_and_saveexec_b64 s[2:3], s[0:1]
	s_cbranch_execz .LBB0_11
; %bb.10:
	v_add_u32_e32 v0, 0x400, v113
	ds_read2_b64 v[56:59], v0 offset0:68 offset1:166
	v_add_u32_e32 v0, 0x800, v113
	ds_read2_b64 v[60:63], v0 offset0:136 offset1:234
	;; [unrolled: 2-line block ×6, first 2 shown]
	v_add_u32_e32 v0, 0x2800, v113
	ds_read2_b64 v[52:55], v113 offset1:98
	ds_read2_b64 v[0:3], v0 offset0:92 offset1:190
	ds_read_b64 v[81:82], v113 offset:12544
.LBB0_11:
	s_or_b64 exec, exec, s[2:3]
	s_waitcnt lgkmcnt(0)
	s_barrier
	s_and_saveexec_b64 s[2:3], s[0:1]
	s_cbranch_execz .LBB0_13
; %bb.12:
	v_sub_f32_e32 v124, v54, v81
	v_mul_f32_e32 v156, 0xbf763a35, v124
	v_sub_f32_e32 v125, v56, v2
	v_add_f32_e32 v140, v82, v55
	v_mov_b32_e32 v97, v156
	v_mul_f32_e32 v157, 0x3f06c442, v125
	v_fmac_f32_e32 v97, 0xbe8c1d8e, v140
	v_add_f32_e32 v141, v3, v57
	v_mov_b32_e32 v98, v157
	v_sub_f32_e32 v126, v58, v0
	v_add_f32_e32 v97, v53, v97
	v_fmac_f32_e32 v98, 0xbf59a7d5, v141
	v_mul_f32_e32 v158, 0x3f2c7751, v126
	v_add_f32_e32 v97, v98, v97
	v_add_f32_e32 v142, v1, v59
	v_mov_b32_e32 v98, v158
	v_sub_f32_e32 v127, v60, v78
	v_fmac_f32_e32 v98, 0x3f3d2fb0, v142
	v_mul_f32_e32 v159, 0xbf65296c, v127
	v_add_f32_e32 v97, v98, v97
	v_add_f32_e32 v143, v79, v61
	v_mov_b32_e32 v98, v159
	v_sub_f32_e32 v128, v62, v76
	v_fmac_f32_e32 v98, 0x3ee437d1, v143
	v_mul_f32_e32 v160, 0xbe3c28d5, v128
	s_mov_b32 s12, 0xbe8c1d8e
	v_add_f32_e32 v97, v98, v97
	v_add_f32_e32 v144, v77, v63
	v_mov_b32_e32 v98, v160
	v_sub_f32_e32 v129, v64, v74
	s_mov_b32 s13, 0xbf59a7d5
	v_fmac_f32_e32 v98, 0xbf7ba420, v144
	v_mul_f32_e32 v161, 0x3f7ee86f, v129
	v_fma_f32 v156, v140, s12, -v156
	s_mov_b32 s14, 0x3f3d2fb0
	v_add_f32_e32 v97, v98, v97
	v_add_f32_e32 v145, v75, v65
	v_mov_b32_e32 v98, v161
	v_sub_f32_e32 v130, v66, v72
	v_add_f32_e32 v156, v53, v156
	v_fma_f32 v157, v141, s13, -v157
	s_mov_b32 s16, 0x3ee437d1
	v_fmac_f32_e32 v98, 0x3dbcf732, v145
	v_mul_f32_e32 v162, 0xbeb8f4ab, v130
	v_add_f32_e32 v156, v157, v156
	v_fma_f32 v157, v142, s14, -v158
	s_mov_b32 s15, 0xbf7ba420
	v_add_f32_e32 v97, v98, v97
	v_add_f32_e32 v146, v73, v67
	v_mov_b32_e32 v98, v162
	v_sub_f32_e32 v131, v68, v70
	v_add_f32_e32 v156, v157, v156
	v_fma_f32 v157, v143, s16, -v159
	s_mov_b32 s17, 0x3dbcf732
	v_fmac_f32_e32 v98, 0x3f6eb680, v146
	v_mul_f32_e32 v163, 0xbf4c4adb, v131
	v_add_f32_e32 v156, v157, v156
	v_fma_f32 v157, v144, s15, -v160
	s_mov_b32 s19, 0x3f6eb680
	v_add_f32_e32 v97, v98, v97
	v_add_f32_e32 v147, v71, v69
	v_mov_b32_e32 v98, v163
	v_sub_f32_e32 v148, v55, v82
	v_add_f32_e32 v156, v157, v156
	v_fma_f32 v157, v145, s17, -v161
	s_mov_b32 s18, 0xbf1a4643
	v_fmac_f32_e32 v98, 0xbf1a4643, v147
	v_add_f32_e32 v132, v81, v54
	v_mul_f32_e32 v164, 0xbf763a35, v148
	v_sub_f32_e32 v149, v57, v3
	v_add_f32_e32 v156, v157, v156
	v_fma_f32 v157, v146, s19, -v162
	v_add_f32_e32 v98, v98, v97
	v_fma_f32 v97, v132, s12, -v164
	v_add_f32_e32 v133, v2, v56
	v_mul_f32_e32 v165, 0x3f06c442, v149
	v_add_f32_e32 v156, v157, v156
	v_fma_f32 v157, v147, s18, -v163
	v_fmac_f32_e32 v164, 0xbe8c1d8e, v132
	v_fma_f32 v99, v133, s13, -v165
	v_sub_f32_e32 v150, v59, v1
	v_add_f32_e32 v157, v157, v156
	v_add_f32_e32 v156, v52, v164
	v_fmac_f32_e32 v165, 0xbf59a7d5, v133
	v_mul_f32_e32 v164, 0x3dbcf732, v140
	v_add_f32_e32 v97, v52, v97
	v_add_f32_e32 v134, v0, v58
	v_mul_f32_e32 v166, 0x3f2c7751, v150
	v_add_f32_e32 v156, v165, v156
	v_mov_b32_e32 v158, v164
	v_mul_f32_e32 v165, 0xbf7ba420, v141
	v_add_f32_e32 v97, v99, v97
	v_fma_f32 v99, v134, s14, -v166
	v_sub_f32_e32 v151, v61, v79
	v_fmac_f32_e32 v166, 0x3f3d2fb0, v134
	v_fmac_f32_e32 v158, 0x3f7ee86f, v124
	v_mov_b32_e32 v159, v165
	v_add_f32_e32 v135, v78, v60
	v_mul_f32_e32 v167, 0xbf65296c, v151
	v_add_f32_e32 v156, v166, v156
	v_add_f32_e32 v158, v53, v158
	v_fmac_f32_e32 v159, 0x3e3c28d5, v125
	v_mul_f32_e32 v166, 0xbe8c1d8e, v142
	v_add_f32_e32 v97, v99, v97
	v_fma_f32 v99, v135, s16, -v167
	v_sub_f32_e32 v152, v63, v77
	v_fmac_f32_e32 v167, 0x3ee437d1, v135
	v_add_f32_e32 v158, v159, v158
	v_mov_b32_e32 v159, v166
	v_add_f32_e32 v136, v76, v62
	v_mul_f32_e32 v168, 0xbe3c28d5, v152
	v_sub_f32_e32 v153, v65, v75
	v_add_f32_e32 v156, v167, v156
	v_fmac_f32_e32 v159, 0xbf763a35, v126
	v_mul_f32_e32 v167, 0x3f6eb680, v143
	v_add_f32_e32 v97, v99, v97
	v_fma_f32 v99, v136, s15, -v168
	v_add_f32_e32 v137, v74, v64
	v_mul_f32_e32 v169, 0x3f7ee86f, v153
	v_sub_f32_e32 v154, v67, v73
	v_fmac_f32_e32 v168, 0xbf7ba420, v136
	v_add_f32_e32 v158, v159, v158
	v_mov_b32_e32 v159, v167
	v_add_f32_e32 v97, v99, v97
	v_fma_f32 v99, v137, s17, -v169
	v_add_f32_e32 v138, v72, v66
	v_mul_f32_e32 v170, 0xbeb8f4ab, v154
	v_sub_f32_e32 v155, v69, v71
	v_add_f32_e32 v156, v168, v156
	v_fmac_f32_e32 v159, 0xbeb8f4ab, v127
	v_mul_f32_e32 v168, 0x3ee437d1, v144
	v_add_f32_e32 v97, v99, v97
	v_fma_f32 v99, v138, s19, -v170
	v_add_f32_e32 v139, v70, v68
	v_mul_f32_e32 v171, 0xbf4c4adb, v155
	v_fmac_f32_e32 v169, 0x3dbcf732, v137
	v_add_f32_e32 v158, v159, v158
	v_mov_b32_e32 v159, v168
	v_add_f32_e32 v97, v99, v97
	v_fma_f32 v99, v139, s18, -v171
	v_mul_f32_e32 v109, 0xbf4c4adb, v124
	v_add_f32_e32 v156, v169, v156
	v_fmac_f32_e32 v159, 0x3f65296c, v128
	v_mul_f32_e32 v169, 0xbf59a7d5, v145
	v_add_f32_e32 v97, v99, v97
	v_mov_b32_e32 v99, v109
	v_mul_f32_e32 v110, 0x3f763a35, v125
	v_fmac_f32_e32 v170, 0x3f6eb680, v138
	v_add_f32_e32 v158, v159, v158
	v_mov_b32_e32 v159, v169
	v_fmac_f32_e32 v99, 0xbf1a4643, v140
	v_mov_b32_e32 v100, v110
	v_add_f32_e32 v156, v170, v156
	v_fmac_f32_e32 v159, 0x3f06c442, v129
	v_mul_f32_e32 v170, 0xbf1a4643, v146
	v_add_f32_e32 v99, v53, v99
	v_fmac_f32_e32 v100, 0xbe8c1d8e, v141
	v_mul_f32_e32 v172, 0xbeb8f4ab, v126
	v_fmac_f32_e32 v171, 0xbf1a4643, v139
	v_add_f32_e32 v158, v159, v158
	v_mov_b32_e32 v159, v170
	v_add_f32_e32 v99, v100, v99
	v_mov_b32_e32 v100, v172
	v_fma_f32 v109, v140, s18, -v109
	v_add_f32_e32 v156, v171, v156
	v_fmac_f32_e32 v159, 0xbf4c4adb, v130
	v_mul_f32_e32 v171, 0x3f3d2fb0, v147
	v_fmac_f32_e32 v100, 0x3f6eb680, v142
	v_mul_f32_e32 v173, 0xbf06c442, v127
	v_add_f32_e32 v109, v53, v109
	v_fma_f32 v110, v141, s12, -v110
	v_add_f32_e32 v158, v159, v158
	v_mov_b32_e32 v159, v171
	v_add_f32_e32 v99, v100, v99
	v_mov_b32_e32 v100, v173
	v_add_f32_e32 v109, v110, v109
	v_fma_f32 v110, v142, s19, -v172
	v_fmac_f32_e32 v159, 0xbf2c7751, v131
	v_mul_f32_e32 v172, 0xbf7ee86f, v148
	v_fmac_f32_e32 v100, 0xbf59a7d5, v143
	v_mul_f32_e32 v174, 0x3f7ee86f, v128
	v_add_f32_e32 v109, v110, v109
	v_fma_f32 v110, v143, s13, -v173
	v_add_f32_e32 v159, v159, v158
	v_mov_b32_e32 v158, v172
	v_mul_f32_e32 v173, 0xbe3c28d5, v149
	v_add_f32_e32 v99, v100, v99
	v_mov_b32_e32 v100, v174
	v_fmac_f32_e32 v158, 0x3dbcf732, v132
	v_mov_b32_e32 v160, v173
	v_fmac_f32_e32 v100, 0x3dbcf732, v144
	v_mul_f32_e32 v175, 0xbf2c7751, v129
	v_add_f32_e32 v109, v110, v109
	v_fma_f32 v110, v144, s17, -v174
	v_add_f32_e32 v158, v52, v158
	v_fmac_f32_e32 v160, 0xbf7ba420, v133
	v_mul_f32_e32 v174, 0x3f763a35, v150
	v_add_f32_e32 v99, v100, v99
	v_mov_b32_e32 v100, v175
	v_add_f32_e32 v158, v160, v158
	v_mov_b32_e32 v160, v174
	v_fmac_f32_e32 v100, 0x3f3d2fb0, v145
	v_mul_f32_e32 v176, 0xbe3c28d5, v130
	v_add_f32_e32 v109, v110, v109
	v_fma_f32 v110, v145, s14, -v175
	v_fmac_f32_e32 v160, 0xbe8c1d8e, v134
	v_mul_f32_e32 v175, 0x3eb8f4ab, v151
	v_add_f32_e32 v99, v100, v99
	v_mov_b32_e32 v100, v176
	v_add_f32_e32 v158, v160, v158
	v_mov_b32_e32 v160, v175
	v_fmac_f32_e32 v100, 0xbf7ba420, v146
	v_mul_f32_e32 v177, 0x3f65296c, v131
	v_add_f32_e32 v109, v110, v109
	v_fma_f32 v110, v146, s15, -v176
	;; [unrolled: 10-line block ×3, first 2 shown]
	v_fmac_f32_e32 v160, 0x3ee437d1, v136
	v_mul_f32_e32 v177, 0xbf06c442, v153
	v_add_f32_e32 v100, v100, v99
	v_fma_f32 v99, v132, s18, -v178
	v_fmac_f32_e32 v178, 0xbf1a4643, v132
	v_add_f32_e32 v158, v160, v158
	v_mov_b32_e32 v160, v177
	v_mul_f32_e32 v179, 0x3f763a35, v149
	v_add_f32_e32 v110, v110, v109
	v_add_f32_e32 v109, v52, v178
	v_fmac_f32_e32 v160, 0xbf59a7d5, v137
	v_mul_f32_e32 v178, 0x3f4c4adb, v154
	v_fma_f32 v101, v133, s12, -v179
	v_fmac_f32_e32 v179, 0xbe8c1d8e, v133
	v_add_f32_e32 v158, v160, v158
	v_mov_b32_e32 v160, v178
	v_add_f32_e32 v99, v52, v99
	v_mul_f32_e32 v180, 0xbeb8f4ab, v150
	v_add_f32_e32 v109, v179, v109
	v_fmac_f32_e32 v160, 0xbf1a4643, v138
	v_mul_f32_e32 v179, 0x3f2c7751, v155
	v_add_f32_e32 v99, v101, v99
	v_fma_f32 v101, v134, s19, -v180
	v_mul_f32_e32 v181, 0xbf06c442, v151
	v_fmac_f32_e32 v180, 0x3f6eb680, v134
	v_add_f32_e32 v158, v160, v158
	v_mov_b32_e32 v160, v179
	v_add_f32_e32 v99, v101, v99
	v_fma_f32 v101, v135, s13, -v181
	v_add_f32_e32 v109, v180, v109
	v_fmac_f32_e32 v181, 0xbf59a7d5, v135
	v_fmac_f32_e32 v160, 0x3f3d2fb0, v139
	v_mul_f32_e32 v180, 0x3ee437d1, v140
	v_mul_f32_e32 v182, 0x3f7ee86f, v152
	v_add_f32_e32 v109, v181, v109
	v_add_f32_e32 v158, v160, v158
	v_mov_b32_e32 v160, v180
	v_mul_f32_e32 v181, 0xbf1a4643, v141
	v_add_f32_e32 v99, v101, v99
	v_fma_f32 v101, v136, s17, -v182
	v_mul_f32_e32 v183, 0xbf2c7751, v153
	v_fmac_f32_e32 v182, 0x3dbcf732, v136
	v_fmac_f32_e32 v160, 0x3f65296c, v124
	v_mov_b32_e32 v161, v181
	v_add_f32_e32 v99, v101, v99
	v_fma_f32 v101, v137, s14, -v183
	v_mul_f32_e32 v184, 0xbe3c28d5, v154
	v_add_f32_e32 v109, v182, v109
	v_add_f32_e32 v160, v53, v160
	v_fmac_f32_e32 v161, 0x3f4c4adb, v125
	v_mul_f32_e32 v182, 0xbf7ba420, v142
	v_add_f32_e32 v99, v101, v99
	v_fma_f32 v101, v138, s15, -v184
	v_mul_f32_e32 v185, 0x3f65296c, v155
	v_fmac_f32_e32 v183, 0x3f3d2fb0, v137
	v_add_f32_e32 v160, v161, v160
	v_mov_b32_e32 v161, v182
	v_add_f32_e32 v99, v101, v99
	v_fma_f32 v101, v139, s16, -v185
	v_mul_f32_e32 v107, 0xbf06c442, v124
	v_add_f32_e32 v109, v183, v109
	v_fmac_f32_e32 v161, 0xbe3c28d5, v126
	v_mul_f32_e32 v183, 0xbe8c1d8e, v143
	v_add_f32_e32 v99, v101, v99
	v_mov_b32_e32 v101, v107
	v_mul_f32_e32 v108, 0x3f65296c, v125
	v_fmac_f32_e32 v184, 0xbf7ba420, v138
	v_add_f32_e32 v160, v161, v160
	v_mov_b32_e32 v161, v183
	v_fmac_f32_e32 v101, 0xbf59a7d5, v140
	v_mov_b32_e32 v102, v108
	v_add_f32_e32 v109, v184, v109
	v_fmac_f32_e32 v161, 0xbf763a35, v127
	v_mul_f32_e32 v184, 0x3f3d2fb0, v144
	v_add_f32_e32 v101, v53, v101
	v_fmac_f32_e32 v102, 0x3ee437d1, v141
	v_mul_f32_e32 v186, 0xbf7ee86f, v126
	v_fmac_f32_e32 v185, 0x3ee437d1, v139
	v_add_f32_e32 v160, v161, v160
	v_mov_b32_e32 v161, v184
	v_add_f32_e32 v101, v102, v101
	v_mov_b32_e32 v102, v186
	v_fma_f32 v107, v140, s13, -v107
	v_add_f32_e32 v109, v185, v109
	v_fmac_f32_e32 v161, 0xbf2c7751, v128
	v_mul_f32_e32 v185, 0x3f6eb680, v145
	v_fmac_f32_e32 v102, 0x3dbcf732, v142
	v_mul_f32_e32 v187, 0x3f4c4adb, v127
	v_add_f32_e32 v107, v53, v107
	v_fma_f32 v108, v141, s16, -v108
	v_add_f32_e32 v160, v161, v160
	v_mov_b32_e32 v161, v185
	v_add_f32_e32 v101, v102, v101
	v_mov_b32_e32 v102, v187
	v_add_f32_e32 v107, v108, v107
	v_fma_f32 v108, v142, s17, -v186
	v_fmac_f32_e32 v161, 0x3eb8f4ab, v129
	v_mul_f32_e32 v186, 0x3dbcf732, v146
	v_fmac_f32_e32 v102, 0xbf1a4643, v143
	v_mul_f32_e32 v188, 0xbeb8f4ab, v128
	v_add_f32_e32 v160, v161, v160
	v_mov_b32_e32 v161, v186
	v_add_f32_e32 v101, v102, v101
	v_mov_b32_e32 v102, v188
	v_add_f32_e32 v107, v108, v107
	v_fma_f32 v108, v143, s18, -v187
	v_fmac_f32_e32 v161, 0x3f7ee86f, v130
	v_mul_f32_e32 v187, 0xbf59a7d5, v147
	v_fmac_f32_e32 v102, 0x3f6eb680, v144
	v_mul_f32_e32 v189, 0xbe3c28d5, v129
	;; [unrolled: 10-line block ×3, first 2 shown]
	v_add_f32_e32 v107, v108, v107
	v_fma_f32 v108, v145, s15, -v189
	v_add_f32_e32 v161, v161, v160
	v_mov_b32_e32 v160, v188
	v_mul_f32_e32 v189, 0xbf4c4adb, v149
	v_add_f32_e32 v55, v55, v53
	v_add_f32_e32 v101, v102, v101
	v_mov_b32_e32 v102, v190
	v_fmac_f32_e32 v160, 0x3ee437d1, v132
	v_mov_b32_e32 v162, v189
	v_add_f32_e32 v55, v57, v55
	v_fmac_f32_e32 v102, 0x3f3d2fb0, v146
	v_mul_f32_e32 v191, 0xbf763a35, v131
	v_add_f32_e32 v107, v108, v107
	v_fma_f32 v108, v146, s14, -v190
	v_add_f32_e32 v160, v52, v160
	v_fmac_f32_e32 v162, 0xbf1a4643, v133
	v_mul_f32_e32 v190, 0x3e3c28d5, v150
	v_add_f32_e32 v55, v59, v55
	v_add_f32_e32 v101, v102, v101
	v_mov_b32_e32 v102, v191
	v_add_f32_e32 v160, v162, v160
	v_mov_b32_e32 v162, v190
	v_add_f32_e32 v55, v61, v55
	v_fmac_f32_e32 v102, 0xbe8c1d8e, v147
	v_mul_f32_e32 v192, 0xbf06c442, v148
	v_add_f32_e32 v107, v108, v107
	v_fma_f32 v108, v147, s12, -v191
	v_fmac_f32_e32 v162, 0xbf7ba420, v134
	v_mul_f32_e32 v191, 0x3f763a35, v151
	v_add_f32_e32 v55, v63, v55
	v_add_f32_e32 v102, v102, v101
	v_fma_f32 v101, v132, s13, -v192
	v_fmac_f32_e32 v192, 0xbf59a7d5, v132
	v_add_f32_e32 v160, v162, v160
	v_mov_b32_e32 v162, v191
	v_add_f32_e32 v55, v65, v55
	v_mul_f32_e32 v193, 0x3f65296c, v149
	v_add_f32_e32 v108, v108, v107
	v_add_f32_e32 v107, v52, v192
	v_fmac_f32_e32 v162, 0xbe8c1d8e, v135
	v_mul_f32_e32 v192, 0x3f2c7751, v152
	v_add_f32_e32 v55, v67, v55
	v_fma_f32 v103, v133, s16, -v193
	v_fmac_f32_e32 v193, 0x3ee437d1, v133
	v_add_f32_e32 v160, v162, v160
	v_mov_b32_e32 v162, v192
	v_add_f32_e32 v55, v69, v55
	v_add_f32_e32 v101, v52, v101
	v_mul_f32_e32 v194, 0xbf7ee86f, v150
	v_add_f32_e32 v107, v193, v107
	v_fmac_f32_e32 v162, 0x3f3d2fb0, v136
	v_mul_f32_e32 v193, 0xbeb8f4ab, v153
	v_add_f32_e32 v55, v71, v55
	v_add_f32_e32 v101, v103, v101
	v_fma_f32 v103, v134, s17, -v194
	v_mul_f32_e32 v195, 0x3f4c4adb, v151
	v_fmac_f32_e32 v194, 0x3dbcf732, v134
	v_add_f32_e32 v160, v162, v160
	v_mov_b32_e32 v162, v193
	v_add_f32_e32 v55, v73, v55
	v_add_f32_e32 v101, v103, v101
	v_fma_f32 v103, v135, s18, -v195
	v_mul_f32_e32 v196, 0xbeb8f4ab, v152
	v_add_f32_e32 v107, v194, v107
	v_fmac_f32_e32 v162, 0x3f6eb680, v137
	v_mul_f32_e32 v194, 0xbf7ee86f, v154
	v_add_f32_e32 v55, v75, v55
	v_add_f32_e32 v101, v103, v101
	v_fma_f32 v103, v136, s19, -v196
	v_mul_f32_e32 v197, 0xbe3c28d5, v153
	v_fmac_f32_e32 v195, 0xbf1a4643, v135
	v_add_f32_e32 v160, v162, v160
	v_mov_b32_e32 v162, v194
	v_add_f32_e32 v55, v77, v55
	v_add_f32_e32 v101, v103, v101
	v_fma_f32 v103, v137, s15, -v197
	v_mul_f32_e32 v198, 0x3f2c7751, v154
	v_add_f32_e32 v107, v195, v107
	v_fmac_f32_e32 v162, 0x3dbcf732, v138
	v_mul_f32_e32 v195, 0xbf06c442, v155
	v_add_f32_e32 v55, v79, v55
	v_add_f32_e32 v101, v103, v101
	v_fma_f32 v103, v138, s14, -v198
	v_mul_f32_e32 v199, 0xbf763a35, v155
	v_fmac_f32_e32 v196, 0x3f6eb680, v136
	v_add_f32_e32 v160, v162, v160
	v_mov_b32_e32 v162, v195
	v_add_f32_e32 v1, v1, v55
	v_add_f32_e32 v101, v103, v101
	v_fma_f32 v103, v139, s12, -v199
	v_mul_f32_e32 v105, 0xbe3c28d5, v124
	v_add_f32_e32 v107, v196, v107
	v_fmac_f32_e32 v197, 0xbf7ba420, v137
	v_fmac_f32_e32 v162, 0xbf59a7d5, v139
	v_mul_f32_e32 v196, 0x3f3d2fb0, v140
	v_add_f32_e32 v1, v3, v1
	v_add_f32_e32 v3, v54, v52
	;; [unrolled: 1-line block ×3, first 2 shown]
	v_mov_b32_e32 v103, v105
	v_mul_f32_e32 v106, 0x3eb8f4ab, v125
	v_add_f32_e32 v107, v197, v107
	v_add_f32_e32 v160, v162, v160
	v_mov_b32_e32 v162, v196
	v_mul_f32_e32 v197, 0x3dbcf732, v141
	v_add_f32_e32 v3, v56, v3
	v_fmac_f32_e32 v103, 0xbf7ba420, v140
	v_mov_b32_e32 v104, v106
	v_fmac_f32_e32 v198, 0x3f3d2fb0, v138
	v_fmac_f32_e32 v162, 0x3f2c7751, v124
	v_mov_b32_e32 v163, v197
	v_add_f32_e32 v3, v58, v3
	v_add_f32_e32 v103, v53, v103
	v_fmac_f32_e32 v104, 0x3f6eb680, v141
	v_mul_f32_e32 v200, 0xbf06c442, v126
	v_add_f32_e32 v107, v198, v107
	v_add_f32_e32 v162, v53, v162
	v_fmac_f32_e32 v163, 0x3f7ee86f, v125
	v_mul_f32_e32 v198, 0xbf1a4643, v142
	v_add_f32_e32 v3, v60, v3
	v_add_f32_e32 v103, v104, v103
	v_mov_b32_e32 v104, v200
	v_fmac_f32_e32 v199, 0xbe8c1d8e, v139
	v_add_f32_e32 v162, v163, v162
	v_mov_b32_e32 v163, v198
	v_add_f32_e32 v3, v62, v3
	v_fmac_f32_e32 v104, 0xbf59a7d5, v142
	v_mul_f32_e32 v201, 0x3f2c7751, v127
	v_fma_f32 v105, v140, s15, -v105
	v_add_f32_e32 v107, v199, v107
	v_fmac_f32_e32 v163, 0x3f4c4adb, v126
	v_mul_f32_e32 v199, 0xbf7ba420, v143
	v_add_f32_e32 v3, v64, v3
	v_add_f32_e32 v103, v104, v103
	v_mov_b32_e32 v104, v201
	v_add_f32_e32 v105, v53, v105
	v_fma_f32 v106, v141, s19, -v106
	v_add_f32_e32 v162, v163, v162
	v_mov_b32_e32 v163, v199
	v_add_f32_e32 v3, v66, v3
	v_fmac_f32_e32 v104, 0x3f3d2fb0, v143
	v_mul_f32_e32 v202, 0xbf4c4adb, v128
	v_add_f32_e32 v105, v106, v105
	v_fma_f32 v106, v142, s13, -v200
	v_fmac_f32_e32 v163, 0x3e3c28d5, v127
	v_mul_f32_e32 v200, 0xbf59a7d5, v144
	v_add_f32_e32 v3, v68, v3
	v_add_f32_e32 v103, v104, v103
	v_mov_b32_e32 v104, v202
	v_add_f32_e32 v162, v163, v162
	v_mov_b32_e32 v163, v200
	v_add_f32_e32 v3, v70, v3
	v_fmac_f32_e32 v104, 0xbf1a4643, v144
	v_mul_f32_e32 v203, 0x3f65296c, v129
	v_add_f32_e32 v105, v106, v105
	v_fma_f32 v106, v143, s14, -v201
	v_fmac_f32_e32 v163, 0xbf06c442, v128
	v_mul_f32_e32 v201, 0xbe8c1d8e, v145
	v_add_f32_e32 v3, v72, v3
	v_add_f32_e32 v103, v104, v103
	v_mov_b32_e32 v104, v203
	;; [unrolled: 12-line block ×3, first 2 shown]
	v_add_f32_e32 v162, v163, v162
	v_mov_b32_e32 v163, v202
	v_add_f32_e32 v3, v78, v3
	v_fmac_f32_e32 v104, 0xbe8c1d8e, v146
	v_mul_f32_e32 v205, 0x3f7ee86f, v131
	v_add_f32_e32 v105, v106, v105
	v_fma_f32 v106, v145, s16, -v203
	v_fmac_f32_e32 v163, 0xbf65296c, v130
	v_mul_f32_e32 v203, 0x3f6eb680, v147
	v_add_f32_e32 v0, v0, v3
	v_fmac_f32_e32 v164, 0xbf7ee86f, v124
	v_add_f32_e32 v103, v104, v103
	v_mov_b32_e32 v104, v205
	v_add_f32_e32 v162, v163, v162
	v_mov_b32_e32 v163, v203
	v_add_f32_e32 v0, v2, v0
	v_add_f32_e32 v2, v53, v164
	v_fmac_f32_e32 v165, 0xbe3c28d5, v125
	v_fmac_f32_e32 v104, 0x3dbcf732, v147
	v_mul_f32_e32 v206, 0xbe3c28d5, v148
	v_add_f32_e32 v105, v106, v105
	v_fma_f32 v106, v146, s12, -v204
	v_fmac_f32_e32 v163, 0xbeb8f4ab, v131
	v_mul_f32_e32 v204, 0xbf2c7751, v148
	v_add_f32_e32 v2, v165, v2
	v_fmac_f32_e32 v166, 0x3f763a35, v126
	v_add_f32_e32 v104, v104, v103
	v_fma_f32 v103, v132, s15, -v206
	v_add_f32_e32 v105, v106, v105
	v_fma_f32 v106, v147, s17, -v205
	v_fmac_f32_e32 v206, 0xbf7ba420, v132
	v_add_f32_e32 v163, v163, v162
	v_mov_b32_e32 v162, v204
	v_mul_f32_e32 v205, 0xbf7ee86f, v149
	v_add_f32_e32 v2, v166, v2
	v_fmac_f32_e32 v167, 0x3eb8f4ab, v127
	v_add_f32_e32 v106, v106, v105
	v_add_f32_e32 v105, v52, v206
	v_fmac_f32_e32 v162, 0x3f3d2fb0, v132
	v_mov_b32_e32 v206, v205
	v_add_f32_e32 v2, v167, v2
	v_fmac_f32_e32 v168, 0xbf65296c, v128
	v_mul_f32_e32 v207, 0x3eb8f4ab, v149
	v_add_f32_e32 v162, v52, v162
	v_fmac_f32_e32 v206, 0x3dbcf732, v133
	v_add_f32_e32 v2, v168, v2
	v_fmac_f32_e32 v169, 0xbf06c442, v129
	v_fma_f32 v208, v133, s19, -v207
	v_fmac_f32_e32 v207, 0x3f6eb680, v133
	v_add_f32_e32 v162, v206, v162
	v_mul_f32_e32 v206, 0xbf4c4adb, v150
	v_add_f32_e32 v2, v169, v2
	v_fmac_f32_e32 v170, 0x3f4c4adb, v130
	v_add_f32_e32 v103, v52, v103
	v_add_f32_e32 v105, v207, v105
	v_mov_b32_e32 v207, v206
	v_add_f32_e32 v2, v170, v2
	v_fmac_f32_e32 v171, 0x3f2c7751, v131
	v_add_f32_e32 v103, v208, v103
	v_mul_f32_e32 v208, 0xbf06c442, v150
	v_fmac_f32_e32 v207, 0xbf1a4643, v134
	v_add_f32_e32 v3, v171, v2
	v_fma_f32 v2, v132, s17, -v172
	v_fma_f32 v209, v134, s13, -v208
	v_fmac_f32_e32 v208, 0xbf59a7d5, v134
	v_add_f32_e32 v162, v207, v162
	v_mul_f32_e32 v207, 0xbe3c28d5, v151
	v_add_f32_e32 v2, v52, v2
	v_fma_f32 v54, v133, s15, -v173
	v_add_f32_e32 v105, v208, v105
	v_mov_b32_e32 v208, v207
	v_add_f32_e32 v2, v54, v2
	v_fma_f32 v54, v134, s12, -v174
	v_add_f32_e32 v103, v209, v103
	v_mul_f32_e32 v209, 0x3f2c7751, v151
	v_fmac_f32_e32 v208, 0xbf7ba420, v135
	v_add_f32_e32 v2, v54, v2
	v_fma_f32 v54, v135, s19, -v175
	v_fma_f32 v210, v135, s14, -v209
	v_fmac_f32_e32 v209, 0x3f3d2fb0, v135
	v_add_f32_e32 v162, v208, v162
	v_mul_f32_e32 v208, 0x3f06c442, v152
	v_add_f32_e32 v2, v54, v2
	v_fma_f32 v54, v136, s16, -v176
	v_add_f32_e32 v105, v209, v105
	v_mov_b32_e32 v209, v208
	v_add_f32_e32 v2, v54, v2
	v_fma_f32 v54, v137, s13, -v177
	v_add_f32_e32 v103, v210, v103
	v_mul_f32_e32 v210, 0xbf4c4adb, v152
	v_fmac_f32_e32 v209, 0xbf59a7d5, v136
	v_add_f32_e32 v2, v54, v2
	v_fma_f32 v54, v138, s18, -v178
	v_fma_f32 v211, v136, s18, -v210
	v_fmac_f32_e32 v210, 0xbf1a4643, v136
	v_add_f32_e32 v162, v209, v162
	v_mul_f32_e32 v209, 0x3f763a35, v153
	v_add_f32_e32 v2, v54, v2
	v_fma_f32 v54, v139, s14, -v179
	v_fmac_f32_e32 v180, 0xbf65296c, v124
	v_add_f32_e32 v105, v210, v105
	v_mov_b32_e32 v210, v209
	v_add_f32_e32 v2, v54, v2
	v_add_f32_e32 v54, v53, v180
	v_fmac_f32_e32 v181, 0xbf4c4adb, v125
	v_add_f32_e32 v103, v211, v103
	v_mul_f32_e32 v211, 0x3f65296c, v153
	v_fmac_f32_e32 v210, 0xbe8c1d8e, v137
	v_add_f32_e32 v54, v181, v54
	v_fmac_f32_e32 v182, 0x3e3c28d5, v126
	v_fma_f32 v212, v137, s16, -v211
	v_fmac_f32_e32 v211, 0x3ee437d1, v137
	v_add_f32_e32 v162, v210, v162
	v_mul_f32_e32 v210, 0x3f65296c, v154
	v_add_f32_e32 v54, v182, v54
	v_fmac_f32_e32 v183, 0x3f763a35, v127
	v_add_f32_e32 v105, v211, v105
	v_mov_b32_e32 v211, v210
	v_add_f32_e32 v54, v183, v54
	v_fmac_f32_e32 v184, 0x3f2c7751, v128
	v_add_f32_e32 v103, v212, v103
	v_mul_f32_e32 v212, 0xbf763a35, v154
	v_fmac_f32_e32 v211, 0x3ee437d1, v138
	v_add_f32_e32 v54, v184, v54
	v_fmac_f32_e32 v185, 0xbeb8f4ab, v129
	v_fma_f32 v213, v138, s12, -v212
	v_fmac_f32_e32 v212, 0xbe8c1d8e, v138
	v_add_f32_e32 v162, v211, v162
	v_mul_f32_e32 v211, 0x3eb8f4ab, v155
	v_add_f32_e32 v54, v185, v54
	v_fmac_f32_e32 v186, 0xbf7ee86f, v130
	v_add_f32_e32 v105, v212, v105
	v_mov_b32_e32 v212, v211
	v_add_f32_e32 v54, v186, v54
	v_fmac_f32_e32 v187, 0xbf06c442, v131
	v_add_f32_e32 v103, v213, v103
	v_mul_f32_e32 v213, 0x3f7ee86f, v155
	v_fmac_f32_e32 v212, 0x3f6eb680, v139
	v_add_f32_e32 v55, v187, v54
	v_fma_f32 v54, v132, s16, -v188
	v_fma_f32 v214, v139, s17, -v213
	v_fmac_f32_e32 v213, 0x3dbcf732, v139
	v_add_f32_e32 v162, v212, v162
	v_mul_f32_e32 v212, 0x3f6eb680, v140
	v_add_f32_e32 v54, v52, v54
	v_fma_f32 v56, v133, s18, -v189
	v_add_f32_e32 v105, v213, v105
	v_mov_b32_e32 v140, v212
	v_mul_f32_e32 v213, 0x3f3d2fb0, v141
	v_add_f32_e32 v54, v56, v54
	v_fma_f32 v56, v134, s15, -v190
	v_fmac_f32_e32 v140, 0x3eb8f4ab, v124
	v_mov_b32_e32 v141, v213
	v_add_f32_e32 v54, v56, v54
	v_fma_f32 v56, v135, s12, -v191
	v_add_f32_e32 v140, v53, v140
	v_fmac_f32_e32 v141, 0x3f2c7751, v125
	v_mul_f32_e32 v142, 0x3ee437d1, v142
	v_add_f32_e32 v54, v56, v54
	v_fma_f32 v56, v136, s14, -v192
	v_add_f32_e32 v140, v141, v140
	v_mov_b32_e32 v141, v142
	v_add_f32_e32 v54, v56, v54
	v_fma_f32 v56, v137, s19, -v193
	v_fmac_f32_e32 v141, 0x3f65296c, v126
	v_mul_f32_e32 v143, 0x3dbcf732, v143
	v_add_f32_e32 v54, v56, v54
	v_fma_f32 v56, v138, s17, -v194
	v_add_f32_e32 v140, v141, v140
	v_mov_b32_e32 v141, v143
	v_add_f32_e32 v54, v56, v54
	v_fma_f32 v56, v139, s13, -v195
	v_fmac_f32_e32 v196, 0xbf2c7751, v124
	v_fmac_f32_e32 v141, 0x3f7ee86f, v127
	v_mul_f32_e32 v144, 0xbe8c1d8e, v144
	v_add_f32_e32 v54, v56, v54
	v_add_f32_e32 v56, v53, v196
	v_fmac_f32_e32 v197, 0xbf7ee86f, v125
	v_add_f32_e32 v140, v141, v140
	v_mov_b32_e32 v141, v144
	v_add_f32_e32 v56, v197, v56
	v_fmac_f32_e32 v198, 0xbf4c4adb, v126
	v_fmac_f32_e32 v141, 0x3f763a35, v128
	v_mul_f32_e32 v145, 0xbf1a4643, v145
	v_add_f32_e32 v56, v198, v56
	v_fmac_f32_e32 v199, 0xbe3c28d5, v127
	v_add_f32_e32 v140, v141, v140
	v_mov_b32_e32 v141, v145
	v_add_f32_e32 v56, v199, v56
	v_fmac_f32_e32 v200, 0x3f06c442, v128
	v_fmac_f32_e32 v141, 0x3f4c4adb, v129
	v_mul_f32_e32 v146, 0xbf59a7d5, v146
	;; [unrolled: 8-line block ×3, first 2 shown]
	v_add_f32_e32 v56, v202, v56
	v_fmac_f32_e32 v203, 0x3eb8f4ab, v131
	v_add_f32_e32 v140, v141, v140
	v_mov_b32_e32 v141, v147
	v_add_f32_e32 v57, v203, v56
	v_fma_f32 v56, v132, s14, -v204
	v_fmac_f32_e32 v141, 0x3e3c28d5, v131
	v_mul_f32_e32 v148, 0xbeb8f4ab, v148
	v_add_f32_e32 v56, v52, v56
	v_fma_f32 v58, v133, s17, -v205
	v_add_f32_e32 v141, v141, v140
	v_mov_b32_e32 v140, v148
	v_mul_f32_e32 v149, 0xbf2c7751, v149
	v_add_f32_e32 v56, v58, v56
	v_fma_f32 v58, v134, s18, -v206
	v_add_f32_e32 v103, v214, v103
	v_fmac_f32_e32 v140, 0x3f6eb680, v132
	v_mov_b32_e32 v214, v149
	v_add_f32_e32 v56, v58, v56
	v_fma_f32 v58, v135, s15, -v207
	v_add_f32_e32 v140, v52, v140
	v_fmac_f32_e32 v214, 0x3f3d2fb0, v133
	v_mul_f32_e32 v150, 0xbf65296c, v150
	v_add_f32_e32 v56, v58, v56
	v_fma_f32 v58, v136, s13, -v208
	v_add_f32_e32 v140, v214, v140
	v_mov_b32_e32 v214, v150
	v_add_f32_e32 v56, v58, v56
	v_fma_f32 v58, v137, s12, -v209
	v_fmac_f32_e32 v214, 0x3ee437d1, v134
	v_mul_f32_e32 v151, 0xbf7ee86f, v151
	v_add_f32_e32 v56, v58, v56
	v_fma_f32 v58, v138, s16, -v210
	v_add_f32_e32 v140, v214, v140
	v_mov_b32_e32 v214, v151
	v_add_f32_e32 v56, v58, v56
	v_fma_f32 v58, v139, s19, -v211
	;; [unrolled: 8-line block ×3, first 2 shown]
	v_fmac_f32_e32 v214, 0xbe8c1d8e, v136
	v_mul_f32_e32 v153, 0xbf4c4adb, v153
	v_fmac_f32_e32 v212, 0xbeb8f4ab, v124
	v_add_f32_e32 v52, v58, v52
	v_fma_f32 v58, v134, s16, -v150
	v_add_f32_e32 v140, v214, v140
	v_mov_b32_e32 v214, v153
	v_add_f32_e32 v53, v53, v212
	v_fmac_f32_e32 v213, 0xbf2c7751, v125
	v_add_f32_e32 v52, v58, v52
	v_fma_f32 v58, v135, s17, -v151
	v_fmac_f32_e32 v214, 0xbf1a4643, v137
	v_mul_f32_e32 v154, 0xbf06c442, v154
	v_add_f32_e32 v53, v213, v53
	v_fmac_f32_e32 v142, 0xbf65296c, v126
	v_add_f32_e32 v52, v58, v52
	v_fma_f32 v58, v136, s12, -v152
	v_add_f32_e32 v140, v214, v140
	v_mov_b32_e32 v214, v154
	v_add_f32_e32 v53, v142, v53
	v_fmac_f32_e32 v143, 0xbf7ee86f, v127
	v_add_f32_e32 v52, v58, v52
	v_fma_f32 v58, v137, s18, -v153
	v_fmac_f32_e32 v214, 0xbf59a7d5, v138
	v_mul_f32_e32 v155, 0xbe3c28d5, v155
	v_add_f32_e32 v53, v143, v53
	v_fmac_f32_e32 v144, 0xbf763a35, v128
	v_add_f32_e32 v52, v58, v52
	v_fma_f32 v58, v138, s13, -v154
	v_add_f32_e32 v140, v214, v140
	v_mov_b32_e32 v214, v155
	v_add_f32_e32 v53, v144, v53
	v_fmac_f32_e32 v145, 0xbf4c4adb, v129
	v_add_f32_e32 v52, v58, v52
	v_fma_f32 v58, v139, s15, -v155
	v_fmac_f32_e32 v214, 0xbf7ba420, v139
	v_add_f32_e32 v53, v145, v53
	v_fmac_f32_e32 v146, 0xbf06c442, v130
	v_add_f32_e32 v52, v58, v52
	v_mul_lo_u16_e32 v58, 17, v112
	v_add_f32_e32 v140, v214, v140
	v_add_f32_e32 v1, v82, v1
	;; [unrolled: 1-line block ×4, first 2 shown]
	v_fmac_f32_e32 v147, 0xbe3c28d5, v131
	v_lshlrev_b32_e32 v58, 3, v58
	v_add_f32_e32 v53, v147, v53
	ds_write2_b64 v58, v[0:1], v[140:141] offset1:1
	ds_write2_b64 v58, v[162:163], v[160:161] offset0:2 offset1:3
	ds_write2_b64 v58, v[158:159], v[156:157] offset0:4 offset1:5
	;; [unrolled: 1-line block ×7, first 2 shown]
	ds_write_b64 v58, v[52:53] offset:128
.LBB0_13:
	s_or_b64 exec, exec, s[2:3]
	v_add_u32_e32 v0, 0x1400, v113
	s_waitcnt lgkmcnt(0)
	s_barrier
	ds_read2_b64 v[58:61], v0 offset0:74 offset1:193
	v_add_u32_e32 v1, 0x1c00, v113
	ds_read2_b64 v[62:65], v1 offset0:56 offset1:175
	v_add_u32_e32 v2, 0x2400, v113
	ds_read2_b64 v[70:73], v2 offset0:38 offset1:157
	v_add_u32_e32 v3, 0x2c00, v113
	s_waitcnt lgkmcnt(2)
	v_mul_f32_e32 v78, v90, v61
	ds_read2_b64 v[97:100], v3 offset0:20 offset1:139
	v_fmac_f32_e32 v78, v89, v60
	v_mul_f32_e32 v60, v90, v60
	v_fma_f32 v61, v89, v61, -v60
	s_waitcnt lgkmcnt(2)
	v_mul_f32_e32 v60, v88, v62
	v_add_u32_e32 v52, 0x400, v113
	v_add_u32_e32 v53, 0xc00, v113
	v_mul_f32_e32 v79, v88, v63
	v_fma_f32 v63, v87, v63, -v60
	v_mul_f32_e32 v60, v86, v64
	ds_read2_b64 v[54:57], v113 offset1:119
	ds_read2_b64 v[66:69], v52 offset0:110 offset1:229
	ds_read2_b64 v[74:77], v53 offset0:92 offset1:211
	v_mul_f32_e32 v81, v86, v65
	v_fma_f32 v65, v85, v65, -v60
	s_waitcnt lgkmcnt(4)
	v_mul_f32_e32 v60, v84, v70
	v_mul_f32_e32 v82, v84, v71
	v_fma_f32 v71, v83, v71, -v60
	v_mul_f32_e32 v60, v92, v72
	v_fmac_f32_e32 v82, v83, v70
	v_mul_f32_e32 v83, v92, v73
	v_fma_f32 v73, v91, v73, -v60
	s_waitcnt lgkmcnt(3)
	v_mul_f32_e32 v60, v96, v97
	v_fmac_f32_e32 v81, v85, v64
	v_mul_f32_e32 v84, v96, v98
	v_fma_f32 v85, v95, v98, -v60
	v_mul_f32_e32 v86, v94, v100
	v_mul_f32_e32 v60, v94, v99
	v_fmac_f32_e32 v79, v87, v62
	v_fmac_f32_e32 v83, v91, v72
	;; [unrolled: 1-line block ×4, first 2 shown]
	v_fma_f32 v87, v93, v100, -v60
	s_waitcnt lgkmcnt(2)
	v_sub_f32_e32 v60, v54, v78
	v_sub_f32_e32 v61, v55, v61
	v_sub_f32_e32 v62, v56, v79
	v_sub_f32_e32 v63, v57, v63
	s_waitcnt lgkmcnt(1)
	v_sub_f32_e32 v64, v66, v81
	v_sub_f32_e32 v65, v67, v65
	v_sub_f32_e32 v70, v68, v82
	v_sub_f32_e32 v71, v69, v71
	;; [unrolled: 5-line block ×3, first 2 shown]
	v_sub_f32_e32 v81, v58, v86
	v_sub_f32_e32 v82, v59, v87
	v_fma_f32 v54, v54, 2.0, -v60
	v_fma_f32 v55, v55, 2.0, -v61
	;; [unrolled: 1-line block ×14, first 2 shown]
	s_barrier
	ds_write2_b64 v115, v[54:55], v[60:61] offset1:17
	ds_write2_b64 v116, v[56:57], v[62:63] offset1:17
	;; [unrolled: 1-line block ×7, first 2 shown]
	s_waitcnt lgkmcnt(0)
	s_barrier
	ds_read2_b64 v[54:57], v113 offset1:119
	ds_read2_b64 v[58:61], v52 offset0:110 offset1:229
	ds_read2_b64 v[62:65], v53 offset0:92 offset1:211
	;; [unrolled: 1-line block ×6, first 2 shown]
	s_waitcnt lgkmcnt(5)
	v_mul_f32_e32 v78, v13, v59
	v_mul_f32_e32 v13, v13, v58
	v_fmac_f32_e32 v78, v12, v58
	v_fma_f32 v12, v12, v59, -v13
	s_waitcnt lgkmcnt(4)
	v_mul_f32_e32 v13, v15, v63
	v_mul_f32_e32 v15, v15, v62
	v_fmac_f32_e32 v13, v14, v62
	v_fma_f32 v14, v14, v63, -v15
	;; [unrolled: 5-line block ×6, first 2 shown]
	v_mul_f32_e32 v27, v21, v61
	v_mul_f32_e32 v21, v21, v60
	v_fmac_f32_e32 v27, v20, v60
	v_fma_f32 v20, v20, v61, -v21
	v_mul_f32_e32 v21, v23, v65
	v_mul_f32_e32 v23, v23, v64
	v_fmac_f32_e32 v21, v22, v64
	v_fma_f32 v22, v22, v65, -v23
	;; [unrolled: 4-line block ×3, first 2 shown]
	v_mul_f32_e32 v59, v19, v73
	v_mul_f32_e32 v16, v19, v72
	;; [unrolled: 1-line block ×4, first 2 shown]
	v_fmac_f32_e32 v19, v8, v76
	v_fma_f32 v60, v8, v77, -v9
	v_mul_f32_e32 v8, v11, v83
	v_mul_f32_e32 v61, v11, v84
	v_fma_f32 v62, v10, v84, -v8
	v_add_f32_e32 v8, v78, v25
	v_add_f32_e32 v9, v12, v26
	v_sub_f32_e32 v11, v12, v26
	v_add_f32_e32 v12, v13, v7
	v_fmac_f32_e32 v59, v18, v72
	v_fma_f32 v18, v18, v73, -v16
	v_add_f32_e32 v16, v14, v24
	v_sub_f32_e32 v7, v13, v7
	v_sub_f32_e32 v13, v14, v24
	v_add_f32_e32 v14, v15, v5
	v_add_f32_e32 v17, v4, v6
	v_sub_f32_e32 v4, v6, v4
	v_add_f32_e32 v6, v12, v8
	v_sub_f32_e32 v5, v5, v15
	v_add_f32_e32 v15, v16, v9
	v_add_f32_e32 v6, v14, v6
	v_fmac_f32_e32 v61, v10, v83
	v_sub_f32_e32 v10, v78, v25
	v_sub_f32_e32 v24, v12, v8
	;; [unrolled: 1-line block ×4, first 2 shown]
	v_add_f32_e32 v26, v5, v7
	v_add_f32_e32 v63, v4, v13
	v_sub_f32_e32 v64, v5, v7
	v_sub_f32_e32 v65, v4, v13
	;; [unrolled: 1-line block ×3, first 2 shown]
	v_add_f32_e32 v14, v17, v15
	v_add_f32_e32 v4, v54, v6
	v_sub_f32_e32 v25, v16, v9
	v_sub_f32_e32 v9, v9, v17
	;; [unrolled: 1-line block ×6, first 2 shown]
	v_add_f32_e32 v10, v26, v10
	v_add_f32_e32 v5, v55, v14
	v_mul_f32_e32 v26, 0x3f08b237, v64
	v_mov_b32_e32 v64, v4
	v_add_f32_e32 v11, v63, v11
	v_mul_f32_e32 v8, 0x3f4a47b2, v8
	v_mul_f32_e32 v9, 0x3f4a47b2, v9
	;; [unrolled: 1-line block ×5, first 2 shown]
	s_mov_b32 s2, 0xbf5ff5aa
	v_mul_f32_e32 v55, 0xbf5ff5aa, v7
	v_mul_f32_e32 v63, 0xbf5ff5aa, v13
	v_fmac_f32_e32 v64, 0xbf955555, v6
	v_mov_b32_e32 v6, v5
	s_mov_b32 s12, 0x3f3bfb3b
	s_mov_b32 s3, 0xbf3bfb3b
	;; [unrolled: 1-line block ×3, first 2 shown]
	v_fmac_f32_e32 v6, 0xbf955555, v14
	v_fma_f32 v14, v24, s12, -v15
	v_fma_f32 v15, v25, s12, -v17
	;; [unrolled: 1-line block ×3, first 2 shown]
	v_fmac_f32_e32 v8, 0x3d64c772, v12
	v_fma_f32 v12, v25, s3, -v9
	v_fmac_f32_e32 v9, 0x3d64c772, v16
	v_fma_f32 v16, v7, s2, -v26
	;; [unrolled: 2-line block ×3, first 2 shown]
	v_fma_f32 v24, v66, s13, -v55
	v_fma_f32 v25, v67, s13, -v63
	v_fmac_f32_e32 v54, 0xbeae86e6, v67
	v_add_f32_e32 v55, v8, v64
	v_add_f32_e32 v63, v9, v6
	;; [unrolled: 1-line block ×6, first 2 shown]
	v_fmac_f32_e32 v26, 0xbee1c552, v10
	v_fmac_f32_e32 v16, 0xbee1c552, v10
	v_fmac_f32_e32 v13, 0xbee1c552, v11
	v_fmac_f32_e32 v24, 0xbee1c552, v10
	v_fmac_f32_e32 v25, 0xbee1c552, v11
	v_fmac_f32_e32 v54, 0xbee1c552, v11
	v_sub_f32_e32 v7, v63, v26
	v_add_f32_e32 v8, v25, v17
	v_sub_f32_e32 v9, v64, v24
	v_sub_f32_e32 v10, v14, v13
	v_add_f32_e32 v11, v16, v15
	v_add_f32_e32 v12, v13, v14
	v_sub_f32_e32 v13, v15, v16
	v_sub_f32_e32 v14, v17, v25
	v_add_f32_e32 v15, v24, v64
	v_add_f32_e32 v17, v26, v63
	;; [unrolled: 1-line block ×3, first 2 shown]
	v_sub_f32_e32 v26, v27, v61
	v_add_f32_e32 v27, v21, v19
	v_add_f32_e32 v6, v54, v55
	v_sub_f32_e32 v16, v55, v54
	v_add_f32_e32 v25, v20, v62
	v_add_f32_e32 v54, v22, v60
	v_sub_f32_e32 v19, v21, v19
	v_sub_f32_e32 v21, v22, v60
	v_add_f32_e32 v22, v23, v59
	v_add_f32_e32 v55, v58, v18
	v_sub_f32_e32 v18, v18, v58
	v_add_f32_e32 v58, v27, v24
	v_sub_f32_e32 v20, v20, v62
	v_sub_f32_e32 v23, v59, v23
	v_add_f32_e32 v59, v54, v25
	v_sub_f32_e32 v60, v27, v24
	v_sub_f32_e32 v24, v24, v22
	v_sub_f32_e32 v27, v22, v27
	v_add_f32_e32 v22, v22, v58
	v_sub_f32_e32 v61, v54, v25
	;; [unrolled: 4-line block ×3, first 2 shown]
	v_sub_f32_e32 v65, v18, v21
	v_sub_f32_e32 v66, v20, v18
	v_add_f32_e32 v55, v55, v59
	v_add_f32_e32 v18, v56, v22
	;; [unrolled: 1-line block ×3, first 2 shown]
	v_sub_f32_e32 v67, v19, v26
	v_sub_f32_e32 v21, v21, v20
	v_add_f32_e32 v19, v57, v55
	v_mul_f32_e32 v58, 0x3f08b237, v64
	v_mov_b32_e32 v64, v18
	v_sub_f32_e32 v23, v26, v23
	v_add_f32_e32 v26, v62, v26
	v_add_f32_e32 v20, v63, v20
	v_mul_f32_e32 v24, 0x3f4a47b2, v24
	v_mul_f32_e32 v25, 0x3f4a47b2, v25
	;; [unrolled: 1-line block ×7, first 2 shown]
	v_fmac_f32_e32 v64, 0xbf955555, v22
	v_mov_b32_e32 v22, v19
	v_fmac_f32_e32 v22, 0xbf955555, v55
	v_fma_f32 v55, v60, s12, -v56
	v_fma_f32 v56, v61, s12, -v57
	;; [unrolled: 1-line block ×3, first 2 shown]
	v_fmac_f32_e32 v24, 0x3d64c772, v27
	v_fma_f32 v27, v61, s3, -v25
	v_fmac_f32_e32 v25, 0x3d64c772, v54
	v_fma_f32 v54, v67, s2, -v58
	;; [unrolled: 2-line block ×4, first 2 shown]
	v_fma_f32 v62, v66, s13, -v63
	v_add_f32_e32 v63, v24, v64
	v_add_f32_e32 v65, v25, v22
	;; [unrolled: 1-line block ×6, first 2 shown]
	v_fmac_f32_e32 v58, 0xbee1c552, v26
	v_fmac_f32_e32 v59, 0xbee1c552, v20
	;; [unrolled: 1-line block ×6, first 2 shown]
	v_add_f32_e32 v20, v59, v63
	v_sub_f32_e32 v21, v65, v58
	v_add_f32_e32 v22, v62, v57
	v_sub_f32_e32 v23, v64, v61
	v_sub_f32_e32 v24, v55, v60
	v_add_f32_e32 v25, v54, v56
	v_add_f32_e32 v26, v60, v55
	v_sub_f32_e32 v27, v56, v54
	v_sub_f32_e32 v54, v57, v62
	v_add_f32_e32 v55, v61, v64
	v_sub_f32_e32 v56, v63, v59
	v_add_f32_e32 v57, v58, v65
	s_barrier
	ds_write2_b64 v122, v[4:5], v[6:7] offset1:34
	ds_write2_b64 v122, v[8:9], v[10:11] offset0:68 offset1:102
	ds_write2_b64 v122, v[12:13], v[14:15] offset0:136 offset1:170
	ds_write_b64 v122, v[16:17] offset:1632
	ds_write2_b64 v123, v[18:19], v[20:21] offset1:34
	ds_write2_b64 v123, v[22:23], v[24:25] offset0:68 offset1:102
	ds_write2_b64 v123, v[26:27], v[54:55] offset0:136 offset1:170
	ds_write_b64 v123, v[56:57] offset:1632
	s_waitcnt lgkmcnt(0)
	s_barrier
	ds_read2_b64 v[4:7], v113 offset1:119
	ds_read2_b64 v[8:11], v52 offset0:110 offset1:229
	ds_read2_b64 v[12:15], v53 offset0:92 offset1:211
	;; [unrolled: 1-line block ×6, first 2 shown]
	s_waitcnt lgkmcnt(5)
	v_mul_f32_e32 v58, v41, v9
	v_fmac_f32_e32 v58, v40, v8
	v_mul_f32_e32 v8, v41, v8
	v_fma_f32 v8, v40, v9, -v8
	s_waitcnt lgkmcnt(4)
	v_mul_f32_e32 v9, v43, v13
	v_fmac_f32_e32 v9, v42, v12
	v_mul_f32_e32 v12, v43, v12
	v_fma_f32 v12, v42, v13, -v12
	;; [unrolled: 5-line block ×4, first 2 shown]
	s_waitcnt lgkmcnt(1)
	v_mul_f32_e32 v21, v29, v25
	v_fmac_f32_e32 v21, v28, v24
	v_mul_f32_e32 v24, v29, v24
	v_mul_f32_e32 v29, v49, v11
	v_fma_f32 v24, v28, v25, -v24
	s_waitcnt lgkmcnt(0)
	v_mul_f32_e32 v25, v31, v55
	v_mul_f32_e32 v28, v31, v54
	v_fmac_f32_e32 v29, v48, v10
	v_mul_f32_e32 v10, v49, v10
	v_fmac_f32_e32 v25, v30, v54
	v_fma_f32 v28, v30, v55, -v28
	v_fma_f32 v30, v48, v11, -v10
	v_mul_f32_e32 v10, v51, v14
	v_fma_f32 v32, v50, v15, -v10
	v_mul_f32_e32 v10, v45, v18
	;; [unrolled: 2-line block ×3, first 2 shown]
	v_mul_f32_e32 v10, v47, v22
	v_fmac_f32_e32 v35, v46, v22
	v_fma_f32 v22, v46, v23, -v10
	v_mul_f32_e32 v23, v37, v27
	v_mul_f32_e32 v10, v37, v26
	v_fmac_f32_e32 v23, v36, v26
	v_fma_f32 v26, v36, v27, -v10
	v_mul_f32_e32 v10, v39, v56
	v_mul_f32_e32 v31, v51, v15
	;; [unrolled: 1-line block ×3, first 2 shown]
	v_fma_f32 v36, v38, v57, -v10
	v_add_f32_e32 v10, v58, v25
	v_add_f32_e32 v15, v9, v21
	v_fmac_f32_e32 v33, v44, v18
	v_add_f32_e32 v11, v8, v28
	v_add_f32_e32 v18, v12, v24
	;; [unrolled: 1-line block ×3, first 2 shown]
	v_sub_f32_e32 v13, v17, v13
	v_add_f32_e32 v17, v15, v10
	v_sub_f32_e32 v9, v9, v21
	v_add_f32_e32 v21, v16, v20
	;; [unrolled: 2-line block ×3, first 2 shown]
	v_add_f32_e32 v17, v19, v17
	v_mul_f32_e32 v27, v39, v57
	v_sub_f32_e32 v12, v12, v24
	v_sub_f32_e32 v24, v15, v10
	;; [unrolled: 1-line block ×4, first 2 shown]
	v_add_f32_e32 v19, v21, v20
	v_add_f32_e32 v4, v4, v17
	v_fmac_f32_e32 v31, v50, v14
	v_fmac_f32_e32 v27, v38, v56
	v_sub_f32_e32 v14, v58, v25
	v_sub_f32_e32 v8, v8, v28
	;; [unrolled: 1-line block ×5, first 2 shown]
	v_add_f32_e32 v28, v13, v9
	v_add_f32_e32 v37, v16, v12
	v_sub_f32_e32 v38, v13, v9
	v_sub_f32_e32 v39, v16, v12
	v_add_f32_e32 v5, v5, v19
	v_mov_b32_e32 v40, v4
	v_sub_f32_e32 v13, v14, v13
	v_sub_f32_e32 v16, v8, v16
	;; [unrolled: 1-line block ×4, first 2 shown]
	v_add_f32_e32 v14, v28, v14
	v_add_f32_e32 v8, v37, v8
	v_mul_f32_e32 v10, 0x3f4a47b2, v10
	v_mul_f32_e32 v11, 0x3f4a47b2, v11
	;; [unrolled: 1-line block ×6, first 2 shown]
	v_fmac_f32_e32 v40, 0xbf955555, v17
	v_mov_b32_e32 v17, v5
	v_mul_f32_e32 v38, 0xbf5ff5aa, v9
	v_mul_f32_e32 v39, 0xbf5ff5aa, v12
	v_fmac_f32_e32 v17, 0xbf955555, v19
	v_fma_f32 v19, v24, s12, -v20
	v_fma_f32 v20, v25, s12, -v21
	;; [unrolled: 1-line block ×3, first 2 shown]
	v_fmac_f32_e32 v10, 0x3d64c772, v15
	v_fma_f32 v15, v25, s3, -v11
	v_fmac_f32_e32 v11, 0x3d64c772, v18
	v_fma_f32 v18, v9, s2, -v28
	v_fma_f32 v24, v12, s2, -v37
	v_fmac_f32_e32 v28, 0xbeae86e6, v13
	v_fmac_f32_e32 v37, 0xbeae86e6, v16
	v_fma_f32 v25, v13, s13, -v38
	v_fma_f32 v16, v16, s13, -v39
	v_add_f32_e32 v19, v19, v40
	v_add_f32_e32 v20, v20, v17
	v_fmac_f32_e32 v18, 0xbee1c552, v14
	v_fmac_f32_e32 v24, 0xbee1c552, v8
	v_add_f32_e32 v39, v11, v17
	v_add_f32_e32 v21, v21, v40
	;; [unrolled: 1-line block ×3, first 2 shown]
	v_fmac_f32_e32 v28, 0xbee1c552, v14
	v_fmac_f32_e32 v25, 0xbee1c552, v14
	;; [unrolled: 1-line block ×3, first 2 shown]
	v_sub_f32_e32 v12, v19, v24
	v_add_f32_e32 v13, v18, v20
	v_add_f32_e32 v14, v24, v19
	v_sub_f32_e32 v15, v20, v18
	v_add_f32_e32 v20, v29, v27
	v_sub_f32_e32 v24, v29, v27
	v_add_f32_e32 v27, v31, v23
	v_add_f32_e32 v38, v10, v40
	v_sub_f32_e32 v9, v39, v28
	v_add_f32_e32 v10, v16, v21
	v_sub_f32_e32 v16, v21, v16
	v_add_f32_e32 v19, v28, v39
	v_add_f32_e32 v21, v30, v36
	;; [unrolled: 1-line block ×3, first 2 shown]
	v_sub_f32_e32 v26, v32, v26
	v_add_f32_e32 v29, v33, v35
	v_add_f32_e32 v32, v27, v20
	v_sub_f32_e32 v11, v17, v25
	v_add_f32_e32 v17, v25, v17
	v_sub_f32_e32 v25, v30, v36
	v_sub_f32_e32 v23, v31, v23
	v_add_f32_e32 v30, v34, v22
	v_sub_f32_e32 v31, v35, v33
	;; [unrolled: 3-line block ×3, first 2 shown]
	v_sub_f32_e32 v20, v20, v29
	v_sub_f32_e32 v27, v29, v27
	v_add_f32_e32 v29, v29, v32
	v_fmac_f32_e32 v37, 0xbee1c552, v8
	v_sub_f32_e32 v35, v28, v21
	v_sub_f32_e32 v21, v21, v30
	;; [unrolled: 1-line block ×3, first 2 shown]
	v_add_f32_e32 v30, v30, v33
	v_add_f32_e32 v6, v6, v29
	;; [unrolled: 1-line block ×3, first 2 shown]
	v_sub_f32_e32 v18, v38, v37
	v_add_f32_e32 v36, v31, v23
	v_add_f32_e32 v37, v22, v26
	v_sub_f32_e32 v38, v31, v23
	v_sub_f32_e32 v39, v22, v26
	;; [unrolled: 1-line block ×4, first 2 shown]
	v_add_f32_e32 v7, v7, v30
	v_mov_b32_e32 v40, v6
	v_sub_f32_e32 v31, v24, v31
	v_sub_f32_e32 v22, v25, v22
	v_add_f32_e32 v24, v36, v24
	v_add_f32_e32 v25, v37, v25
	v_mul_f32_e32 v20, 0x3f4a47b2, v20
	v_mul_f32_e32 v21, 0x3f4a47b2, v21
	;; [unrolled: 1-line block ×8, first 2 shown]
	v_fmac_f32_e32 v40, 0xbf955555, v29
	v_mov_b32_e32 v29, v7
	v_fmac_f32_e32 v29, 0xbf955555, v30
	v_fma_f32 v30, v34, s12, -v32
	v_fma_f32 v32, v35, s12, -v33
	;; [unrolled: 1-line block ×3, first 2 shown]
	v_fmac_f32_e32 v20, 0x3d64c772, v27
	v_fma_f32 v27, v35, s3, -v21
	v_fmac_f32_e32 v21, 0x3d64c772, v28
	v_fma_f32 v28, v23, s2, -v36
	;; [unrolled: 2-line block ×4, first 2 shown]
	v_fma_f32 v34, v22, s13, -v39
	v_add_f32_e32 v35, v20, v40
	v_add_f32_e32 v38, v21, v29
	;; [unrolled: 1-line block ×6, first 2 shown]
	v_fmac_f32_e32 v36, 0xbee1c552, v24
	v_fmac_f32_e32 v37, 0xbee1c552, v25
	v_fmac_f32_e32 v28, 0xbee1c552, v24
	v_fmac_f32_e32 v26, 0xbee1c552, v25
	v_fmac_f32_e32 v31, 0xbee1c552, v24
	v_fmac_f32_e32 v34, 0xbee1c552, v25
	v_add_f32_e32 v20, v37, v35
	v_sub_f32_e32 v21, v38, v36
	v_add_f32_e32 v22, v34, v33
	v_sub_f32_e32 v23, v29, v31
	v_sub_f32_e32 v24, v30, v26
	v_add_f32_e32 v25, v28, v32
	v_add_f32_e32 v26, v26, v30
	v_sub_f32_e32 v27, v32, v28
	v_sub_f32_e32 v28, v33, v34
	v_add_f32_e32 v29, v31, v29
	v_sub_f32_e32 v30, v35, v37
	v_add_f32_e32 v31, v36, v38
	ds_write2_b64 v113, v[4:5], v[6:7] offset1:119
	ds_write2_b64 v52, v[8:9], v[20:21] offset0:110 offset1:229
	ds_write2_b64 v53, v[10:11], v[22:23] offset0:92 offset1:211
	;; [unrolled: 1-line block ×6, first 2 shown]
	s_waitcnt lgkmcnt(0)
	s_barrier
	s_and_b64 exec, exec, s[0:1]
	s_cbranch_execz .LBB0_15
; %bb.14:
	global_load_dwordx2 v[0:1], v111, s[8:9]
	ds_read_b64 v[4:5], v113
	v_mad_u64_u32 v[2:3], s[0:1], s6, v80, 0
	v_mad_u64_u32 v[6:7], s[0:1], s4, v112, 0
	s_waitcnt lgkmcnt(0)
	v_mad_u64_u32 v[8:9], s[2:3], s7, v80, v[3:4]
	s_mov_b32 s0, 0xca869b81
	s_mov_b32 s1, 0x3f43ab2d
	v_mad_u64_u32 v[9:10], s[2:3], s5, v112, v[7:8]
	v_mov_b32_e32 v11, s11
	s_mul_i32 s3, s5, 0x310
	v_mov_b32_e32 v7, v9
	v_lshlrev_b64 v[6:7], 3, v[6:7]
	s_mul_hi_u32 s5, s4, 0x310
	s_mul_i32 s2, s4, 0x310
	s_add_i32 s3, s5, s3
	s_movk_i32 s4, 0x1000
	v_mov_b32_e32 v12, s3
	s_waitcnt vmcnt(0)
	v_mul_f32_e32 v3, v5, v1
	v_mul_f32_e32 v1, v4, v1
	v_fmac_f32_e32 v3, v4, v0
	v_fma_f32 v4, v0, v5, -v1
	v_cvt_f64_f32_e32 v[0:1], v3
	v_cvt_f64_f32_e32 v[4:5], v4
	v_mov_b32_e32 v3, v8
	v_lshlrev_b64 v[2:3], 3, v[2:3]
	v_mul_f64 v[0:1], v[0:1], s[0:1]
	v_mul_f64 v[4:5], v[4:5], s[0:1]
	v_add_co_u32_e32 v2, vcc, s10, v2
	v_addc_co_u32_e32 v3, vcc, v11, v3, vcc
	v_cvt_f32_f64_e32 v0, v[0:1]
	v_cvt_f32_f64_e32 v1, v[4:5]
	v_add_co_u32_e32 v4, vcc, v2, v6
	v_addc_co_u32_e32 v5, vcc, v3, v7, vcc
	global_store_dwordx2 v[4:5], v[0:1], off
	global_load_dwordx2 v[6:7], v111, s[8:9] offset:784
	ds_read2_b64 v[0:3], v114 offset0:98 offset1:196
	v_add_co_u32_e32 v4, vcc, s2, v4
	s_waitcnt vmcnt(0) lgkmcnt(0)
	v_mul_f32_e32 v8, v1, v7
	v_mul_f32_e32 v7, v0, v7
	v_fmac_f32_e32 v8, v0, v6
	v_fma_f32 v6, v6, v1, -v7
	v_cvt_f64_f32_e32 v[0:1], v8
	v_cvt_f64_f32_e32 v[6:7], v6
	v_mov_b32_e32 v8, s3
	v_addc_co_u32_e32 v5, vcc, v5, v8, vcc
	v_mul_f64 v[0:1], v[0:1], s[0:1]
	v_mul_f64 v[6:7], v[6:7], s[0:1]
	v_cvt_f32_f64_e32 v0, v[0:1]
	v_cvt_f32_f64_e32 v1, v[6:7]
	global_store_dwordx2 v[4:5], v[0:1], off
	global_load_dwordx2 v[0:1], v111, s[8:9] offset:1568
	v_add_co_u32_e32 v4, vcc, s2, v4
	s_waitcnt vmcnt(0)
	v_mul_f32_e32 v6, v3, v1
	v_mul_f32_e32 v1, v2, v1
	v_fmac_f32_e32 v6, v2, v0
	v_fma_f32 v2, v0, v3, -v1
	v_cvt_f64_f32_e32 v[0:1], v6
	v_cvt_f64_f32_e32 v[2:3], v2
	v_mov_b32_e32 v6, s3
	v_addc_co_u32_e32 v5, vcc, v5, v6, vcc
	v_mul_f64 v[0:1], v[0:1], s[0:1]
	v_mul_f64 v[2:3], v[2:3], s[0:1]
	v_cvt_f32_f64_e32 v0, v[0:1]
	v_cvt_f32_f64_e32 v1, v[2:3]
	global_store_dwordx2 v[4:5], v[0:1], off
	global_load_dwordx2 v[6:7], v111, s[8:9] offset:2352
	v_add_u32_e32 v0, 0x800, v114
	ds_read2_b64 v[0:3], v0 offset0:38 offset1:136
	v_add_co_u32_e32 v4, vcc, s2, v4
	s_waitcnt vmcnt(0) lgkmcnt(0)
	v_mul_f32_e32 v8, v1, v7
	v_mul_f32_e32 v7, v0, v7
	v_fmac_f32_e32 v8, v0, v6
	v_fma_f32 v6, v6, v1, -v7
	v_cvt_f64_f32_e32 v[0:1], v8
	v_cvt_f64_f32_e32 v[6:7], v6
	v_mov_b32_e32 v8, s3
	v_addc_co_u32_e32 v5, vcc, v5, v8, vcc
	v_mul_f64 v[0:1], v[0:1], s[0:1]
	v_mul_f64 v[6:7], v[6:7], s[0:1]
	v_cvt_f32_f64_e32 v0, v[0:1]
	v_cvt_f32_f64_e32 v1, v[6:7]
	global_store_dwordx2 v[4:5], v[0:1], off
	global_load_dwordx2 v[0:1], v111, s[8:9] offset:3136
	v_add_co_u32_e32 v4, vcc, s2, v4
	s_waitcnt vmcnt(0)
	v_mul_f32_e32 v6, v3, v1
	v_mul_f32_e32 v1, v2, v1
	v_fmac_f32_e32 v6, v2, v0
	v_fma_f32 v2, v0, v3, -v1
	v_cvt_f64_f32_e32 v[0:1], v6
	v_cvt_f64_f32_e32 v[2:3], v2
	v_mov_b32_e32 v6, s3
	v_addc_co_u32_e32 v5, vcc, v5, v6, vcc
	v_mul_f64 v[0:1], v[0:1], s[0:1]
	v_mul_f64 v[2:3], v[2:3], s[0:1]
	v_add_co_u32_e32 v10, vcc, s8, v111
	v_cvt_f32_f64_e32 v0, v[0:1]
	v_cvt_f32_f64_e32 v1, v[2:3]
	global_store_dwordx2 v[4:5], v[0:1], off
	global_load_dwordx2 v[6:7], v111, s[8:9] offset:3920
	v_add_u32_e32 v0, 0xc00, v114
	ds_read2_b64 v[0:3], v0 offset0:106 offset1:204
	s_waitcnt vmcnt(0) lgkmcnt(0)
	v_mul_f32_e32 v8, v1, v7
	v_mul_f32_e32 v7, v0, v7
	v_fmac_f32_e32 v8, v0, v6
	v_fma_f32 v6, v6, v1, -v7
	v_cvt_f64_f32_e32 v[0:1], v8
	v_cvt_f64_f32_e32 v[6:7], v6
	v_mov_b32_e32 v8, s9
	v_addc_co_u32_e32 v11, vcc, 0, v8, vcc
	v_mul_f64 v[0:1], v[0:1], s[0:1]
	v_mul_f64 v[6:7], v[6:7], s[0:1]
	v_add_co_u32_e32 v8, vcc, s4, v10
	v_addc_co_u32_e32 v9, vcc, 0, v11, vcc
	v_add_co_u32_e32 v4, vcc, s2, v4
	v_cvt_f32_f64_e32 v0, v[0:1]
	v_cvt_f32_f64_e32 v1, v[6:7]
	v_addc_co_u32_e32 v5, vcc, v5, v12, vcc
	s_movk_i32 s4, 0x2000
	global_store_dwordx2 v[4:5], v[0:1], off
	global_load_dwordx2 v[0:1], v[8:9], off offset:608
	v_add_co_u32_e32 v4, vcc, s2, v4
	s_waitcnt vmcnt(0)
	v_mul_f32_e32 v6, v3, v1
	v_mul_f32_e32 v1, v2, v1
	v_fmac_f32_e32 v6, v2, v0
	v_fma_f32 v2, v0, v3, -v1
	v_cvt_f64_f32_e32 v[0:1], v6
	v_cvt_f64_f32_e32 v[2:3], v2
	v_mov_b32_e32 v6, s3
	v_addc_co_u32_e32 v5, vcc, v5, v6, vcc
	v_mul_f64 v[0:1], v[0:1], s[0:1]
	v_mul_f64 v[2:3], v[2:3], s[0:1]
	v_cvt_f32_f64_e32 v0, v[0:1]
	v_cvt_f32_f64_e32 v1, v[2:3]
	global_store_dwordx2 v[4:5], v[0:1], off
	global_load_dwordx2 v[6:7], v[8:9], off offset:1392
	v_add_u32_e32 v0, 0x1400, v114
	ds_read2_b64 v[0:3], v0 offset0:46 offset1:144
	v_add_co_u32_e32 v4, vcc, s2, v4
	s_waitcnt vmcnt(0) lgkmcnt(0)
	v_mul_f32_e32 v12, v1, v7
	v_mul_f32_e32 v7, v0, v7
	v_fmac_f32_e32 v12, v0, v6
	v_fma_f32 v6, v6, v1, -v7
	v_cvt_f64_f32_e32 v[0:1], v12
	v_cvt_f64_f32_e32 v[6:7], v6
	v_mov_b32_e32 v12, s3
	v_addc_co_u32_e32 v5, vcc, v5, v12, vcc
	v_mul_f64 v[0:1], v[0:1], s[0:1]
	v_mul_f64 v[6:7], v[6:7], s[0:1]
	v_cvt_f32_f64_e32 v0, v[0:1]
	v_cvt_f32_f64_e32 v1, v[6:7]
	global_store_dwordx2 v[4:5], v[0:1], off
	global_load_dwordx2 v[0:1], v[8:9], off offset:2176
	v_add_co_u32_e32 v4, vcc, s2, v4
	s_waitcnt vmcnt(0)
	v_mul_f32_e32 v6, v3, v1
	v_mul_f32_e32 v1, v2, v1
	v_fmac_f32_e32 v6, v2, v0
	v_fma_f32 v2, v0, v3, -v1
	v_cvt_f64_f32_e32 v[0:1], v6
	v_cvt_f64_f32_e32 v[2:3], v2
	v_mov_b32_e32 v6, s3
	v_addc_co_u32_e32 v5, vcc, v5, v6, vcc
	v_mul_f64 v[0:1], v[0:1], s[0:1]
	v_mul_f64 v[2:3], v[2:3], s[0:1]
	v_cvt_f32_f64_e32 v0, v[0:1]
	v_cvt_f32_f64_e32 v1, v[2:3]
	global_store_dwordx2 v[4:5], v[0:1], off
	global_load_dwordx2 v[6:7], v[8:9], off offset:2960
	v_add_u32_e32 v0, 0x1800, v114
	ds_read2_b64 v[0:3], v0 offset0:114 offset1:212
	v_add_co_u32_e32 v4, vcc, s2, v4
	s_waitcnt vmcnt(0) lgkmcnt(0)
	v_mul_f32_e32 v12, v1, v7
	v_mul_f32_e32 v7, v0, v7
	v_fmac_f32_e32 v12, v0, v6
	v_fma_f32 v6, v6, v1, -v7
	v_cvt_f64_f32_e32 v[0:1], v12
	v_cvt_f64_f32_e32 v[6:7], v6
	v_mov_b32_e32 v12, s3
	v_addc_co_u32_e32 v5, vcc, v5, v12, vcc
	v_mul_f64 v[0:1], v[0:1], s[0:1]
	v_mul_f64 v[6:7], v[6:7], s[0:1]
	v_cvt_f32_f64_e32 v0, v[0:1]
	v_cvt_f32_f64_e32 v1, v[6:7]
	global_store_dwordx2 v[4:5], v[0:1], off
	global_load_dwordx2 v[0:1], v[8:9], off offset:3744
	v_mov_b32_e32 v8, s3
	s_waitcnt vmcnt(0)
	v_mul_f32_e32 v6, v3, v1
	v_mul_f32_e32 v1, v2, v1
	v_fmac_f32_e32 v6, v2, v0
	v_fma_f32 v2, v0, v3, -v1
	v_cvt_f64_f32_e32 v[0:1], v6
	v_cvt_f64_f32_e32 v[2:3], v2
	v_add_co_u32_e32 v6, vcc, s4, v10
	v_mul_f64 v[0:1], v[0:1], s[0:1]
	v_mul_f64 v[2:3], v[2:3], s[0:1]
	v_addc_co_u32_e32 v7, vcc, 0, v11, vcc
	v_add_co_u32_e32 v4, vcc, s2, v4
	v_addc_co_u32_e32 v5, vcc, v5, v8, vcc
	v_cvt_f32_f64_e32 v0, v[0:1]
	v_cvt_f32_f64_e32 v1, v[2:3]
	s_movk_i32 s4, 0x3000
	global_store_dwordx2 v[4:5], v[0:1], off
	global_load_dwordx2 v[8:9], v[6:7], off offset:432
	v_add_u32_e32 v0, 0x2000, v114
	ds_read2_b64 v[0:3], v0 offset0:54 offset1:152
	v_add_co_u32_e32 v4, vcc, s2, v4
	s_waitcnt vmcnt(0) lgkmcnt(0)
	v_mul_f32_e32 v12, v1, v9
	v_mul_f32_e32 v9, v0, v9
	v_fmac_f32_e32 v12, v0, v8
	v_fma_f32 v8, v8, v1, -v9
	v_cvt_f64_f32_e32 v[0:1], v12
	v_cvt_f64_f32_e32 v[8:9], v8
	v_mov_b32_e32 v12, s3
	v_addc_co_u32_e32 v5, vcc, v5, v12, vcc
	v_mul_f64 v[0:1], v[0:1], s[0:1]
	v_mul_f64 v[8:9], v[8:9], s[0:1]
	v_cvt_f32_f64_e32 v0, v[0:1]
	v_cvt_f32_f64_e32 v1, v[8:9]
	global_store_dwordx2 v[4:5], v[0:1], off
	global_load_dwordx2 v[0:1], v[6:7], off offset:1216
	v_add_co_u32_e32 v4, vcc, s2, v4
	s_waitcnt vmcnt(0)
	v_mul_f32_e32 v8, v3, v1
	v_mul_f32_e32 v1, v2, v1
	v_fmac_f32_e32 v8, v2, v0
	v_fma_f32 v2, v0, v3, -v1
	v_cvt_f64_f32_e32 v[0:1], v8
	v_cvt_f64_f32_e32 v[2:3], v2
	v_mov_b32_e32 v8, s3
	v_addc_co_u32_e32 v5, vcc, v5, v8, vcc
	v_mul_f64 v[0:1], v[0:1], s[0:1]
	v_mul_f64 v[2:3], v[2:3], s[0:1]
	v_cvt_f32_f64_e32 v0, v[0:1]
	v_cvt_f32_f64_e32 v1, v[2:3]
	global_store_dwordx2 v[4:5], v[0:1], off
	global_load_dwordx2 v[8:9], v[6:7], off offset:2000
	v_add_u32_e32 v0, 0x2400, v114
	ds_read2_b64 v[0:3], v0 offset0:122 offset1:220
	v_add_co_u32_e32 v4, vcc, s2, v4
	s_waitcnt vmcnt(0) lgkmcnt(0)
	v_mul_f32_e32 v12, v1, v9
	v_mul_f32_e32 v9, v0, v9
	v_fmac_f32_e32 v12, v0, v8
	v_fma_f32 v8, v8, v1, -v9
	v_cvt_f64_f32_e32 v[0:1], v12
	v_cvt_f64_f32_e32 v[8:9], v8
	v_mov_b32_e32 v12, s3
	v_addc_co_u32_e32 v5, vcc, v5, v12, vcc
	v_mul_f64 v[0:1], v[0:1], s[0:1]
	v_mul_f64 v[8:9], v[8:9], s[0:1]
	v_cvt_f32_f64_e32 v0, v[0:1]
	v_cvt_f32_f64_e32 v1, v[8:9]
	global_store_dwordx2 v[4:5], v[0:1], off
	global_load_dwordx2 v[0:1], v[6:7], off offset:2784
	v_add_co_u32_e32 v4, vcc, s2, v4
	s_waitcnt vmcnt(0)
	v_mul_f32_e32 v8, v3, v1
	v_mul_f32_e32 v1, v2, v1
	v_fmac_f32_e32 v8, v2, v0
	v_fma_f32 v2, v0, v3, -v1
	v_cvt_f64_f32_e32 v[0:1], v8
	v_cvt_f64_f32_e32 v[2:3], v2
	v_mov_b32_e32 v8, s3
	v_addc_co_u32_e32 v5, vcc, v5, v8, vcc
	v_mul_f64 v[0:1], v[0:1], s[0:1]
	v_mul_f64 v[2:3], v[2:3], s[0:1]
	v_cvt_f32_f64_e32 v0, v[0:1]
	v_cvt_f32_f64_e32 v1, v[2:3]
	global_store_dwordx2 v[4:5], v[0:1], off
	global_load_dwordx2 v[6:7], v[6:7], off offset:3568
	v_add_u32_e32 v0, 0x2c00, v114
	ds_read2_b64 v[0:3], v0 offset0:62 offset1:160
	s_waitcnt vmcnt(0) lgkmcnt(0)
	v_mul_f32_e32 v8, v1, v7
	v_mul_f32_e32 v7, v0, v7
	v_fmac_f32_e32 v8, v0, v6
	v_fma_f32 v6, v6, v1, -v7
	v_cvt_f64_f32_e32 v[0:1], v8
	v_cvt_f64_f32_e32 v[6:7], v6
	v_add_co_u32_e32 v8, vcc, s4, v10
	v_mul_f64 v[0:1], v[0:1], s[0:1]
	v_mul_f64 v[6:7], v[6:7], s[0:1]
	v_addc_co_u32_e32 v9, vcc, 0, v11, vcc
	v_add_co_u32_e32 v4, vcc, s2, v4
	v_addc_co_u32_e32 v5, vcc, v5, v12, vcc
	v_cvt_f32_f64_e32 v0, v[0:1]
	v_cvt_f32_f64_e32 v1, v[6:7]
	global_store_dwordx2 v[4:5], v[0:1], off
	global_load_dwordx2 v[0:1], v[8:9], off offset:256
	s_waitcnt vmcnt(0)
	v_mul_f32_e32 v6, v3, v1
	v_mul_f32_e32 v1, v2, v1
	v_fmac_f32_e32 v6, v2, v0
	v_fma_f32 v2, v0, v3, -v1
	v_cvt_f64_f32_e32 v[0:1], v6
	v_cvt_f64_f32_e32 v[2:3], v2
	v_mov_b32_e32 v6, s3
	v_mul_f64 v[0:1], v[0:1], s[0:1]
	v_mul_f64 v[2:3], v[2:3], s[0:1]
	v_cvt_f32_f64_e32 v0, v[0:1]
	v_cvt_f32_f64_e32 v1, v[2:3]
	v_add_co_u32_e32 v2, vcc, s2, v4
	v_addc_co_u32_e32 v3, vcc, v5, v6, vcc
	global_store_dwordx2 v[2:3], v[0:1], off
.LBB0_15:
	s_endpgm
	.section	.rodata,"a",@progbits
	.p2align	6, 0x0
	.amdhsa_kernel bluestein_single_fwd_len1666_dim1_sp_op_CI_CI
		.amdhsa_group_segment_fixed_size 13328
		.amdhsa_private_segment_fixed_size 0
		.amdhsa_kernarg_size 104
		.amdhsa_user_sgpr_count 6
		.amdhsa_user_sgpr_private_segment_buffer 1
		.amdhsa_user_sgpr_dispatch_ptr 0
		.amdhsa_user_sgpr_queue_ptr 0
		.amdhsa_user_sgpr_kernarg_segment_ptr 1
		.amdhsa_user_sgpr_dispatch_id 0
		.amdhsa_user_sgpr_flat_scratch_init 0
		.amdhsa_user_sgpr_private_segment_size 0
		.amdhsa_uses_dynamic_stack 0
		.amdhsa_system_sgpr_private_segment_wavefront_offset 0
		.amdhsa_system_sgpr_workgroup_id_x 1
		.amdhsa_system_sgpr_workgroup_id_y 0
		.amdhsa_system_sgpr_workgroup_id_z 0
		.amdhsa_system_sgpr_workgroup_info 0
		.amdhsa_system_vgpr_workitem_id 0
		.amdhsa_next_free_vgpr 215
		.amdhsa_next_free_sgpr 20
		.amdhsa_reserve_vcc 1
		.amdhsa_reserve_flat_scratch 0
		.amdhsa_float_round_mode_32 0
		.amdhsa_float_round_mode_16_64 0
		.amdhsa_float_denorm_mode_32 3
		.amdhsa_float_denorm_mode_16_64 3
		.amdhsa_dx10_clamp 1
		.amdhsa_ieee_mode 1
		.amdhsa_fp16_overflow 0
		.amdhsa_exception_fp_ieee_invalid_op 0
		.amdhsa_exception_fp_denorm_src 0
		.amdhsa_exception_fp_ieee_div_zero 0
		.amdhsa_exception_fp_ieee_overflow 0
		.amdhsa_exception_fp_ieee_underflow 0
		.amdhsa_exception_fp_ieee_inexact 0
		.amdhsa_exception_int_div_zero 0
	.end_amdhsa_kernel
	.text
.Lfunc_end0:
	.size	bluestein_single_fwd_len1666_dim1_sp_op_CI_CI, .Lfunc_end0-bluestein_single_fwd_len1666_dim1_sp_op_CI_CI
                                        ; -- End function
	.section	.AMDGPU.csdata,"",@progbits
; Kernel info:
; codeLenInByte = 20920
; NumSgprs: 24
; NumVgprs: 215
; ScratchSize: 0
; MemoryBound: 0
; FloatMode: 240
; IeeeMode: 1
; LDSByteSize: 13328 bytes/workgroup (compile time only)
; SGPRBlocks: 2
; VGPRBlocks: 53
; NumSGPRsForWavesPerEU: 24
; NumVGPRsForWavesPerEU: 215
; Occupancy: 1
; WaveLimiterHint : 1
; COMPUTE_PGM_RSRC2:SCRATCH_EN: 0
; COMPUTE_PGM_RSRC2:USER_SGPR: 6
; COMPUTE_PGM_RSRC2:TRAP_HANDLER: 0
; COMPUTE_PGM_RSRC2:TGID_X_EN: 1
; COMPUTE_PGM_RSRC2:TGID_Y_EN: 0
; COMPUTE_PGM_RSRC2:TGID_Z_EN: 0
; COMPUTE_PGM_RSRC2:TIDIG_COMP_CNT: 0
	.type	__hip_cuid_c3d0de28e62cfd8d,@object ; @__hip_cuid_c3d0de28e62cfd8d
	.section	.bss,"aw",@nobits
	.globl	__hip_cuid_c3d0de28e62cfd8d
__hip_cuid_c3d0de28e62cfd8d:
	.byte	0                               ; 0x0
	.size	__hip_cuid_c3d0de28e62cfd8d, 1

	.ident	"AMD clang version 19.0.0git (https://github.com/RadeonOpenCompute/llvm-project roc-6.4.0 25133 c7fe45cf4b819c5991fe208aaa96edf142730f1d)"
	.section	".note.GNU-stack","",@progbits
	.addrsig
	.addrsig_sym __hip_cuid_c3d0de28e62cfd8d
	.amdgpu_metadata
---
amdhsa.kernels:
  - .args:
      - .actual_access:  read_only
        .address_space:  global
        .offset:         0
        .size:           8
        .value_kind:     global_buffer
      - .actual_access:  read_only
        .address_space:  global
        .offset:         8
        .size:           8
        .value_kind:     global_buffer
      - .actual_access:  read_only
        .address_space:  global
        .offset:         16
        .size:           8
        .value_kind:     global_buffer
      - .actual_access:  read_only
        .address_space:  global
        .offset:         24
        .size:           8
        .value_kind:     global_buffer
      - .actual_access:  read_only
        .address_space:  global
        .offset:         32
        .size:           8
        .value_kind:     global_buffer
      - .offset:         40
        .size:           8
        .value_kind:     by_value
      - .address_space:  global
        .offset:         48
        .size:           8
        .value_kind:     global_buffer
      - .address_space:  global
        .offset:         56
        .size:           8
        .value_kind:     global_buffer
      - .address_space:  global
        .offset:         64
        .size:           8
        .value_kind:     global_buffer
      - .address_space:  global
        .offset:         72
        .size:           8
        .value_kind:     global_buffer
      - .offset:         80
        .size:           4
        .value_kind:     by_value
      - .address_space:  global
        .offset:         88
        .size:           8
        .value_kind:     global_buffer
      - .address_space:  global
        .offset:         96
        .size:           8
        .value_kind:     global_buffer
    .group_segment_fixed_size: 13328
    .kernarg_segment_align: 8
    .kernarg_segment_size: 104
    .language:       OpenCL C
    .language_version:
      - 2
      - 0
    .max_flat_workgroup_size: 119
    .name:           bluestein_single_fwd_len1666_dim1_sp_op_CI_CI
    .private_segment_fixed_size: 0
    .sgpr_count:     24
    .sgpr_spill_count: 0
    .symbol:         bluestein_single_fwd_len1666_dim1_sp_op_CI_CI.kd
    .uniform_work_group_size: 1
    .uses_dynamic_stack: false
    .vgpr_count:     215
    .vgpr_spill_count: 0
    .wavefront_size: 64
amdhsa.target:   amdgcn-amd-amdhsa--gfx906
amdhsa.version:
  - 1
  - 2
...

	.end_amdgpu_metadata
